;; amdgpu-corpus repo=ROCm/rocBLAS kind=compiled arch=gfx1250 opt=O3
	.amdgcn_target "amdgcn-amd-amdhsa--gfx1250"
	.amdhsa_code_object_version 6
	.section	.text._ZL39rocblas_check_numerics_ge_matrix_kernelILi16ELi16EPfEviiT1_lllP24rocblas_check_numerics_s,"axG",@progbits,_ZL39rocblas_check_numerics_ge_matrix_kernelILi16ELi16EPfEviiT1_lllP24rocblas_check_numerics_s,comdat
	.globl	_ZL39rocblas_check_numerics_ge_matrix_kernelILi16ELi16EPfEviiT1_lllP24rocblas_check_numerics_s ; -- Begin function _ZL39rocblas_check_numerics_ge_matrix_kernelILi16ELi16EPfEviiT1_lllP24rocblas_check_numerics_s
	.p2align	8
	.type	_ZL39rocblas_check_numerics_ge_matrix_kernelILi16ELi16EPfEviiT1_lllP24rocblas_check_numerics_s,@function
_ZL39rocblas_check_numerics_ge_matrix_kernelILi16ELi16EPfEviiT1_lllP24rocblas_check_numerics_s: ; @_ZL39rocblas_check_numerics_ge_matrix_kernelILi16ELi16EPfEviiT1_lllP24rocblas_check_numerics_s
; %bb.0:
	s_clause 0x1
	s_load_b32 s4, s[0:1], 0x3c
	s_load_b64 s[2:3], s[0:1], 0x0
	s_bfe_u32 s6, ttmp6, 0x40010
	s_bfe_u32 s9, ttmp6, 0x4000c
	s_and_b32 s5, ttmp7, 0xffff
	s_add_co_i32 s6, s6, 1
	s_add_co_i32 s9, s9, 1
	s_bfe_u32 s7, ttmp6, 0x40004
	s_and_b32 s8, ttmp6, 15
	s_mul_i32 s6, s5, s6
	s_mul_i32 s9, ttmp9, s9
	s_getreg_b32 s12, hwreg(HW_REG_IB_STS2, 6, 4)
	v_and_b32_e32 v1, 0x3ff, v0
	v_bfe_u32 v2, v0, 10, 10
	s_add_co_i32 s7, s7, s6
	s_add_co_i32 s8, s8, s9
	s_mov_b32 s13, 0
	s_wait_kmcnt 0x0
	s_lshr_b32 s6, s4, 16
	s_and_b32 s4, s4, 0xffff
	s_cmp_eq_u32 s12, 0
	s_cselect_b32 s8, ttmp9, s8
	s_cselect_b32 s5, s5, s7
	v_mad_u32 v0, s8, s4, v1
	v_mad_u32 v2, s5, s6, v2
	s_delay_alu instid0(VALU_DEP_2) | instskip(NEXT) | instid1(VALU_DEP_2)
	v_cmp_gt_i32_e32 vcc_lo, s2, v0
	v_cmp_gt_i32_e64 s2, s3, v2
	s_and_b32 s2, vcc_lo, s2
	s_delay_alu instid0(SALU_CYCLE_1)
	s_and_saveexec_b32 s3, s2
	s_cbranch_execz .LBB0_10
; %bb.1:
	s_load_b256 s[4:11], s[0:1], 0x8
	v_ashrrev_i32_e32 v3, 31, v2
	s_bfe_u32 s2, ttmp6, 0x40014
	v_ashrrev_i32_e32 v1, 31, v0
	s_wait_kmcnt 0x0
	s_delay_alu instid0(VALU_DEP_2)
	v_mul_u64_e32 v[4:5], s[8:9], v[2:3]
	s_lshr_b32 s8, ttmp7, 16
	s_add_co_i32 s9, s2, 1
	s_load_b64 s[2:3], s[0:1], 0x28
	s_wait_xcnt 0x0
	s_mul_i32 s0, s8, s9
	s_bfe_u32 s1, ttmp6, 0x40008
	v_mov_b32_e32 v2, 0
	s_add_co_i32 s1, s1, s0
	s_cmp_eq_u32 s12, 0
	s_cselect_b32 s12, s8, s1
	s_delay_alu instid0(SALU_CYCLE_1) | instskip(NEXT) | instid1(SALU_CYCLE_1)
	s_mul_u64 s[0:1], s[10:11], s[12:13]
	s_lshl_b64 s[0:1], s[0:1], 2
	s_delay_alu instid0(SALU_CYCLE_1) | instskip(SKIP_1) | instid1(SALU_CYCLE_1)
	s_add_nc_u64 s[0:1], s[4:5], s[0:1]
	s_lshl_b64 s[4:5], s[6:7], 2
	s_add_nc_u64 s[0:1], s[0:1], s[4:5]
	s_wait_kmcnt 0x0
	global_load_u8 v3, v2, s[2:3] offset:1
	v_lshl_add_u64 v[4:5], v[4:5], 2, s[0:1]
	s_delay_alu instid0(VALU_DEP_1)
	v_lshl_add_u64 v[0:1], v[0:1], 2, v[4:5]
	global_load_b32 v0, v[0:1], off
	s_wait_loadcnt 0x1
	v_readfirstlane_b32 s0, v3
	s_bitcmp1_b32 s0, 0
	s_cselect_b32 s0, -1, 0
	s_delay_alu instid0(SALU_CYCLE_1) | instskip(SKIP_3) | instid1(SALU_CYCLE_1)
	s_xor_b32 s0, s0, -1
	s_wait_loadcnt 0x0
	v_cmp_eq_f32_e32 vcc_lo, 0, v0
	s_and_b32 s1, s0, vcc_lo
	s_and_saveexec_b32 s0, s1
	s_cbranch_execz .LBB0_3
; %bb.2:
	v_mov_b32_e32 v1, 1
	global_store_b8 v2, v1, s[2:3] offset:1
.LBB0_3:
	s_wait_xcnt 0x0
	s_or_b32 exec_lo, exec_lo, s0
	global_load_u8 v1, v2, s[2:3]
	v_cmp_u_f32_e32 vcc_lo, v0, v0
	s_wait_loadcnt 0x0
	v_readfirstlane_b32 s0, v1
	s_bitcmp1_b32 s0, 0
	s_cselect_b32 s0, -1, 0
	s_delay_alu instid0(SALU_CYCLE_1) | instskip(NEXT) | instid1(SALU_CYCLE_1)
	s_xor_b32 s0, s0, -1
	s_and_b32 s1, s0, vcc_lo
	s_wait_xcnt 0x0
	s_and_saveexec_b32 s0, s1
	s_cbranch_execz .LBB0_5
; %bb.4:
	v_dual_mov_b32 v1, 0 :: v_dual_mov_b32 v2, 1
	global_store_b8 v1, v2, s[2:3]
.LBB0_5:
	s_wait_xcnt 0x0
	s_or_b32 exec_lo, exec_lo, s0
	v_mov_b32_e32 v1, 0
	global_load_u8 v2, v1, s[2:3] offset:2
	s_wait_loadcnt 0x0
	v_readfirstlane_b32 s0, v2
	s_bitcmp1_b32 s0, 0
	v_cmp_class_f32_e64 s0, v0, 0x204
	s_cselect_b32 s1, -1, 0
	s_delay_alu instid0(SALU_CYCLE_1) | instskip(NEXT) | instid1(SALU_CYCLE_1)
	s_xor_b32 s1, s1, -1
	s_and_b32 s1, s1, s0
	s_wait_xcnt 0x0
	s_and_saveexec_b32 s0, s1
	s_cbranch_execz .LBB0_7
; %bb.6:
	v_mov_b32_e32 v2, 1
	global_store_b8 v1, v2, s[2:3] offset:2
.LBB0_7:
	s_wait_xcnt 0x0
	s_or_b32 exec_lo, exec_lo, s0
	global_load_u8 v1, v1, s[2:3] offset:3
	s_wait_loadcnt 0x0
	v_and_b32_e32 v1, 1, v1
	s_delay_alu instid0(VALU_DEP_1)
	v_cmp_eq_u32_e32 vcc_lo, 1, v1
	s_cbranch_vccnz .LBB0_10
; %bb.8:
	v_cmp_gt_f32_e32 vcc_lo, 0, v0
	v_cndmask_b32_e64 v0, v0, -v0, vcc_lo
	s_delay_alu instid0(VALU_DEP_1) | instskip(SKIP_2) | instid1(SALU_CYCLE_1)
	v_cmp_le_f32_e32 vcc_lo, 1, v0
	v_cmp_gt_f32_e64 s0, 0x800000, v0
	s_and_b32 s0, vcc_lo, s0
	s_and_b32 exec_lo, exec_lo, s0
	s_cbranch_execz .LBB0_10
; %bb.9:
	v_dual_mov_b32 v0, 0 :: v_dual_mov_b32 v1, 1
	global_store_b8 v0, v1, s[2:3] offset:3
.LBB0_10:
	s_endpgm
	.section	.rodata,"a",@progbits
	.p2align	6, 0x0
	.amdhsa_kernel _ZL39rocblas_check_numerics_ge_matrix_kernelILi16ELi16EPfEviiT1_lllP24rocblas_check_numerics_s
		.amdhsa_group_segment_fixed_size 0
		.amdhsa_private_segment_fixed_size 0
		.amdhsa_kernarg_size 304
		.amdhsa_user_sgpr_count 2
		.amdhsa_user_sgpr_dispatch_ptr 0
		.amdhsa_user_sgpr_queue_ptr 0
		.amdhsa_user_sgpr_kernarg_segment_ptr 1
		.amdhsa_user_sgpr_dispatch_id 0
		.amdhsa_user_sgpr_kernarg_preload_length 0
		.amdhsa_user_sgpr_kernarg_preload_offset 0
		.amdhsa_user_sgpr_private_segment_size 0
		.amdhsa_wavefront_size32 1
		.amdhsa_uses_dynamic_stack 0
		.amdhsa_enable_private_segment 0
		.amdhsa_system_sgpr_workgroup_id_x 1
		.amdhsa_system_sgpr_workgroup_id_y 1
		.amdhsa_system_sgpr_workgroup_id_z 1
		.amdhsa_system_sgpr_workgroup_info 0
		.amdhsa_system_vgpr_workitem_id 1
		.amdhsa_next_free_vgpr 6
		.amdhsa_next_free_sgpr 14
		.amdhsa_named_barrier_count 0
		.amdhsa_reserve_vcc 1
		.amdhsa_float_round_mode_32 0
		.amdhsa_float_round_mode_16_64 0
		.amdhsa_float_denorm_mode_32 3
		.amdhsa_float_denorm_mode_16_64 3
		.amdhsa_fp16_overflow 0
		.amdhsa_memory_ordered 1
		.amdhsa_forward_progress 1
		.amdhsa_inst_pref_size 6
		.amdhsa_round_robin_scheduling 0
		.amdhsa_exception_fp_ieee_invalid_op 0
		.amdhsa_exception_fp_denorm_src 0
		.amdhsa_exception_fp_ieee_div_zero 0
		.amdhsa_exception_fp_ieee_overflow 0
		.amdhsa_exception_fp_ieee_underflow 0
		.amdhsa_exception_fp_ieee_inexact 0
		.amdhsa_exception_int_div_zero 0
	.end_amdhsa_kernel
	.section	.text._ZL39rocblas_check_numerics_ge_matrix_kernelILi16ELi16EPfEviiT1_lllP24rocblas_check_numerics_s,"axG",@progbits,_ZL39rocblas_check_numerics_ge_matrix_kernelILi16ELi16EPfEviiT1_lllP24rocblas_check_numerics_s,comdat
.Lfunc_end0:
	.size	_ZL39rocblas_check_numerics_ge_matrix_kernelILi16ELi16EPfEviiT1_lllP24rocblas_check_numerics_s, .Lfunc_end0-_ZL39rocblas_check_numerics_ge_matrix_kernelILi16ELi16EPfEviiT1_lllP24rocblas_check_numerics_s
                                        ; -- End function
	.set _ZL39rocblas_check_numerics_ge_matrix_kernelILi16ELi16EPfEviiT1_lllP24rocblas_check_numerics_s.num_vgpr, 6
	.set _ZL39rocblas_check_numerics_ge_matrix_kernelILi16ELi16EPfEviiT1_lllP24rocblas_check_numerics_s.num_agpr, 0
	.set _ZL39rocblas_check_numerics_ge_matrix_kernelILi16ELi16EPfEviiT1_lllP24rocblas_check_numerics_s.numbered_sgpr, 14
	.set _ZL39rocblas_check_numerics_ge_matrix_kernelILi16ELi16EPfEviiT1_lllP24rocblas_check_numerics_s.num_named_barrier, 0
	.set _ZL39rocblas_check_numerics_ge_matrix_kernelILi16ELi16EPfEviiT1_lllP24rocblas_check_numerics_s.private_seg_size, 0
	.set _ZL39rocblas_check_numerics_ge_matrix_kernelILi16ELi16EPfEviiT1_lllP24rocblas_check_numerics_s.uses_vcc, 1
	.set _ZL39rocblas_check_numerics_ge_matrix_kernelILi16ELi16EPfEviiT1_lllP24rocblas_check_numerics_s.uses_flat_scratch, 0
	.set _ZL39rocblas_check_numerics_ge_matrix_kernelILi16ELi16EPfEviiT1_lllP24rocblas_check_numerics_s.has_dyn_sized_stack, 0
	.set _ZL39rocblas_check_numerics_ge_matrix_kernelILi16ELi16EPfEviiT1_lllP24rocblas_check_numerics_s.has_recursion, 0
	.set _ZL39rocblas_check_numerics_ge_matrix_kernelILi16ELi16EPfEviiT1_lllP24rocblas_check_numerics_s.has_indirect_call, 0
	.section	.AMDGPU.csdata,"",@progbits
; Kernel info:
; codeLenInByte = 684
; TotalNumSgprs: 16
; NumVgprs: 6
; ScratchSize: 0
; MemoryBound: 0
; FloatMode: 240
; IeeeMode: 1
; LDSByteSize: 0 bytes/workgroup (compile time only)
; SGPRBlocks: 0
; VGPRBlocks: 0
; NumSGPRsForWavesPerEU: 16
; NumVGPRsForWavesPerEU: 6
; NamedBarCnt: 0
; Occupancy: 16
; WaveLimiterHint : 0
; COMPUTE_PGM_RSRC2:SCRATCH_EN: 0
; COMPUTE_PGM_RSRC2:USER_SGPR: 2
; COMPUTE_PGM_RSRC2:TRAP_HANDLER: 0
; COMPUTE_PGM_RSRC2:TGID_X_EN: 1
; COMPUTE_PGM_RSRC2:TGID_Y_EN: 1
; COMPUTE_PGM_RSRC2:TGID_Z_EN: 1
; COMPUTE_PGM_RSRC2:TIDIG_COMP_CNT: 1
	.section	.text._ZL49rocblas_check_numerics_sym_herm_tri_matrix_kernelILi16ELi16EPfEvbiT1_lllP24rocblas_check_numerics_s,"axG",@progbits,_ZL49rocblas_check_numerics_sym_herm_tri_matrix_kernelILi16ELi16EPfEvbiT1_lllP24rocblas_check_numerics_s,comdat
	.globl	_ZL49rocblas_check_numerics_sym_herm_tri_matrix_kernelILi16ELi16EPfEvbiT1_lllP24rocblas_check_numerics_s ; -- Begin function _ZL49rocblas_check_numerics_sym_herm_tri_matrix_kernelILi16ELi16EPfEvbiT1_lllP24rocblas_check_numerics_s
	.p2align	8
	.type	_ZL49rocblas_check_numerics_sym_herm_tri_matrix_kernelILi16ELi16EPfEvbiT1_lllP24rocblas_check_numerics_s,@function
_ZL49rocblas_check_numerics_sym_herm_tri_matrix_kernelILi16ELi16EPfEvbiT1_lllP24rocblas_check_numerics_s: ; @_ZL49rocblas_check_numerics_sym_herm_tri_matrix_kernelILi16ELi16EPfEvbiT1_lllP24rocblas_check_numerics_s
; %bb.0:
	s_clause 0x1
	s_load_b64 s[2:3], s[0:1], 0x0
	s_load_b32 s4, s[0:1], 0x3c
	s_bfe_u32 s6, ttmp6, 0x4000c
	s_bfe_u32 s8, ttmp6, 0x40010
	s_and_b32 s7, ttmp7, 0xffff
	s_add_co_i32 s6, s6, 1
	s_add_co_i32 s8, s8, 1
	s_and_b32 s5, ttmp6, 15
	s_bfe_u32 s9, ttmp6, 0x40004
	s_mul_i32 s6, ttmp9, s6
	s_mul_i32 s8, s7, s8
	s_getreg_b32 s12, hwreg(HW_REG_IB_STS2, 6, 4)
	v_and_b32_e32 v1, 0x3ff, v0
	v_bfe_u32 v2, v0, 10, 10
	s_add_co_i32 s5, s5, s6
	s_add_co_i32 s9, s9, s8
	s_wait_kmcnt 0x0
	s_and_b32 s2, s2, 1
	s_lshr_b32 s6, s4, 16
	s_and_b32 s4, s4, 0xffff
	s_cmp_eq_u32 s12, 0
	s_cselect_b32 s5, ttmp9, s5
	s_cselect_b32 s7, s7, s9
	v_mad_u32 v0, s5, s4, v1
	v_mad_u32 v2, s7, s6, v2
	s_mov_b32 s4, 0
	s_cmp_eq_u32 s2, 0
	s_mov_b32 s2, -1
	s_cbranch_scc1 .LBB1_4
; %bb.1:
	s_and_not1_b32 vcc_lo, exec_lo, s2
	s_cbranch_vccz .LBB1_5
.LBB1_2:
	s_and_saveexec_b32 s2, s4
	s_cbranch_execnz .LBB1_6
.LBB1_3:
	s_endpgm
.LBB1_4:
	s_delay_alu instid0(VALU_DEP_2) | instskip(NEXT) | instid1(VALU_DEP_2)
	v_cmp_gt_i32_e32 vcc_lo, s3, v0
	v_cmp_le_i32_e64 s2, v2, v0
	s_and_b32 s4, vcc_lo, s2
	s_delay_alu instid0(SALU_CYCLE_1)
	s_and_b32 s4, s4, exec_lo
	s_cbranch_execnz .LBB1_2
.LBB1_5:
	s_delay_alu instid0(VALU_DEP_1) | instskip(NEXT) | instid1(VALU_DEP_3)
	v_cmp_gt_i32_e32 vcc_lo, s3, v2
	v_cmp_le_i32_e64 s2, v0, v2
	s_and_not1_b32 s3, s4, exec_lo
	s_and_b32 s2, vcc_lo, s2
	s_delay_alu instid0(SALU_CYCLE_1) | instskip(NEXT) | instid1(SALU_CYCLE_1)
	s_and_b32 s2, s2, exec_lo
	s_or_b32 s4, s3, s2
	s_delay_alu instid0(SALU_CYCLE_1)
	s_and_saveexec_b32 s2, s4
	s_cbranch_execz .LBB1_3
.LBB1_6:
	s_load_b256 s[4:11], s[0:1], 0x8
	s_delay_alu instid0(VALU_DEP_1) | instskip(SKIP_3) | instid1(VALU_DEP_2)
	v_ashrrev_i32_e32 v3, 31, v2
	s_bfe_u32 s2, ttmp6, 0x40014
	v_ashrrev_i32_e32 v1, 31, v0
	s_wait_kmcnt 0x0
	v_mul_u64_e32 v[4:5], s[8:9], v[2:3]
	s_lshr_b32 s8, ttmp7, 16
	s_add_co_i32 s9, s2, 1
	s_load_b64 s[2:3], s[0:1], 0x28
	s_wait_xcnt 0x0
	s_mul_i32 s0, s8, s9
	s_bfe_u32 s1, ttmp6, 0x40008
	v_mov_b32_e32 v2, 0
	s_add_co_i32 s0, s1, s0
	s_cmp_eq_u32 s12, 0
	s_mov_b32 s1, 0
	s_cselect_b32 s0, s8, s0
	s_delay_alu instid0(SALU_CYCLE_1) | instskip(NEXT) | instid1(SALU_CYCLE_1)
	s_mul_u64 s[0:1], s[10:11], s[0:1]
	s_lshl_b64 s[0:1], s[0:1], 2
	s_delay_alu instid0(SALU_CYCLE_1) | instskip(SKIP_1) | instid1(SALU_CYCLE_1)
	s_add_nc_u64 s[0:1], s[4:5], s[0:1]
	s_lshl_b64 s[4:5], s[6:7], 2
	s_add_nc_u64 s[0:1], s[0:1], s[4:5]
	s_wait_kmcnt 0x0
	global_load_u8 v3, v2, s[2:3] offset:1
	v_lshl_add_u64 v[4:5], v[4:5], 2, s[0:1]
	s_delay_alu instid0(VALU_DEP_1)
	v_lshl_add_u64 v[0:1], v[0:1], 2, v[4:5]
	global_load_b32 v0, v[0:1], off
	s_wait_loadcnt 0x1
	v_readfirstlane_b32 s0, v3
	s_bitcmp1_b32 s0, 0
	s_cselect_b32 s0, -1, 0
	s_delay_alu instid0(SALU_CYCLE_1) | instskip(SKIP_3) | instid1(SALU_CYCLE_1)
	s_xor_b32 s0, s0, -1
	s_wait_loadcnt 0x0
	v_cmp_eq_f32_e32 vcc_lo, 0, v0
	s_and_b32 s1, s0, vcc_lo
	s_and_saveexec_b32 s0, s1
	s_cbranch_execz .LBB1_8
; %bb.7:
	v_mov_b32_e32 v1, 1
	global_store_b8 v2, v1, s[2:3] offset:1
.LBB1_8:
	s_wait_xcnt 0x0
	s_or_b32 exec_lo, exec_lo, s0
	global_load_u8 v1, v2, s[2:3]
	v_cmp_u_f32_e32 vcc_lo, v0, v0
	s_wait_loadcnt 0x0
	v_readfirstlane_b32 s0, v1
	s_bitcmp1_b32 s0, 0
	s_cselect_b32 s0, -1, 0
	s_delay_alu instid0(SALU_CYCLE_1) | instskip(NEXT) | instid1(SALU_CYCLE_1)
	s_xor_b32 s0, s0, -1
	s_and_b32 s1, s0, vcc_lo
	s_wait_xcnt 0x0
	s_and_saveexec_b32 s0, s1
	s_cbranch_execz .LBB1_10
; %bb.9:
	v_dual_mov_b32 v1, 0 :: v_dual_mov_b32 v2, 1
	global_store_b8 v1, v2, s[2:3]
.LBB1_10:
	s_wait_xcnt 0x0
	s_or_b32 exec_lo, exec_lo, s0
	v_mov_b32_e32 v1, 0
	global_load_u8 v2, v1, s[2:3] offset:2
	s_wait_loadcnt 0x0
	v_readfirstlane_b32 s0, v2
	s_bitcmp1_b32 s0, 0
	v_cmp_class_f32_e64 s0, v0, 0x204
	s_cselect_b32 s1, -1, 0
	s_delay_alu instid0(SALU_CYCLE_1) | instskip(NEXT) | instid1(SALU_CYCLE_1)
	s_xor_b32 s1, s1, -1
	s_and_b32 s1, s1, s0
	s_wait_xcnt 0x0
	s_and_saveexec_b32 s0, s1
	s_cbranch_execz .LBB1_12
; %bb.11:
	v_mov_b32_e32 v2, 1
	global_store_b8 v1, v2, s[2:3] offset:2
.LBB1_12:
	s_wait_xcnt 0x0
	s_or_b32 exec_lo, exec_lo, s0
	global_load_u8 v1, v1, s[2:3] offset:3
	s_wait_loadcnt 0x0
	v_and_b32_e32 v1, 1, v1
	s_delay_alu instid0(VALU_DEP_1)
	v_cmp_eq_u32_e32 vcc_lo, 1, v1
	s_cbranch_vccnz .LBB1_3
; %bb.13:
	v_cmp_gt_f32_e32 vcc_lo, 0, v0
	v_cndmask_b32_e64 v0, v0, -v0, vcc_lo
	s_delay_alu instid0(VALU_DEP_1) | instskip(SKIP_2) | instid1(SALU_CYCLE_1)
	v_cmp_le_f32_e32 vcc_lo, 1, v0
	v_cmp_gt_f32_e64 s0, 0x800000, v0
	s_and_b32 s0, vcc_lo, s0
	s_and_b32 exec_lo, exec_lo, s0
	s_cbranch_execz .LBB1_3
; %bb.14:
	v_dual_mov_b32 v0, 0 :: v_dual_mov_b32 v1, 1
	global_store_b8 v0, v1, s[2:3] offset:3
	s_endpgm
	.section	.rodata,"a",@progbits
	.p2align	6, 0x0
	.amdhsa_kernel _ZL49rocblas_check_numerics_sym_herm_tri_matrix_kernelILi16ELi16EPfEvbiT1_lllP24rocblas_check_numerics_s
		.amdhsa_group_segment_fixed_size 0
		.amdhsa_private_segment_fixed_size 0
		.amdhsa_kernarg_size 304
		.amdhsa_user_sgpr_count 2
		.amdhsa_user_sgpr_dispatch_ptr 0
		.amdhsa_user_sgpr_queue_ptr 0
		.amdhsa_user_sgpr_kernarg_segment_ptr 1
		.amdhsa_user_sgpr_dispatch_id 0
		.amdhsa_user_sgpr_kernarg_preload_length 0
		.amdhsa_user_sgpr_kernarg_preload_offset 0
		.amdhsa_user_sgpr_private_segment_size 0
		.amdhsa_wavefront_size32 1
		.amdhsa_uses_dynamic_stack 0
		.amdhsa_enable_private_segment 0
		.amdhsa_system_sgpr_workgroup_id_x 1
		.amdhsa_system_sgpr_workgroup_id_y 1
		.amdhsa_system_sgpr_workgroup_id_z 1
		.amdhsa_system_sgpr_workgroup_info 0
		.amdhsa_system_vgpr_workitem_id 1
		.amdhsa_next_free_vgpr 6
		.amdhsa_next_free_sgpr 13
		.amdhsa_named_barrier_count 0
		.amdhsa_reserve_vcc 1
		.amdhsa_float_round_mode_32 0
		.amdhsa_float_round_mode_16_64 0
		.amdhsa_float_denorm_mode_32 3
		.amdhsa_float_denorm_mode_16_64 3
		.amdhsa_fp16_overflow 0
		.amdhsa_memory_ordered 1
		.amdhsa_forward_progress 1
		.amdhsa_inst_pref_size 7
		.amdhsa_round_robin_scheduling 0
		.amdhsa_exception_fp_ieee_invalid_op 0
		.amdhsa_exception_fp_denorm_src 0
		.amdhsa_exception_fp_ieee_div_zero 0
		.amdhsa_exception_fp_ieee_overflow 0
		.amdhsa_exception_fp_ieee_underflow 0
		.amdhsa_exception_fp_ieee_inexact 0
		.amdhsa_exception_int_div_zero 0
	.end_amdhsa_kernel
	.section	.text._ZL49rocblas_check_numerics_sym_herm_tri_matrix_kernelILi16ELi16EPfEvbiT1_lllP24rocblas_check_numerics_s,"axG",@progbits,_ZL49rocblas_check_numerics_sym_herm_tri_matrix_kernelILi16ELi16EPfEvbiT1_lllP24rocblas_check_numerics_s,comdat
.Lfunc_end1:
	.size	_ZL49rocblas_check_numerics_sym_herm_tri_matrix_kernelILi16ELi16EPfEvbiT1_lllP24rocblas_check_numerics_s, .Lfunc_end1-_ZL49rocblas_check_numerics_sym_herm_tri_matrix_kernelILi16ELi16EPfEvbiT1_lllP24rocblas_check_numerics_s
                                        ; -- End function
	.set _ZL49rocblas_check_numerics_sym_herm_tri_matrix_kernelILi16ELi16EPfEvbiT1_lllP24rocblas_check_numerics_s.num_vgpr, 6
	.set _ZL49rocblas_check_numerics_sym_herm_tri_matrix_kernelILi16ELi16EPfEvbiT1_lllP24rocblas_check_numerics_s.num_agpr, 0
	.set _ZL49rocblas_check_numerics_sym_herm_tri_matrix_kernelILi16ELi16EPfEvbiT1_lllP24rocblas_check_numerics_s.numbered_sgpr, 13
	.set _ZL49rocblas_check_numerics_sym_herm_tri_matrix_kernelILi16ELi16EPfEvbiT1_lllP24rocblas_check_numerics_s.num_named_barrier, 0
	.set _ZL49rocblas_check_numerics_sym_herm_tri_matrix_kernelILi16ELi16EPfEvbiT1_lllP24rocblas_check_numerics_s.private_seg_size, 0
	.set _ZL49rocblas_check_numerics_sym_herm_tri_matrix_kernelILi16ELi16EPfEvbiT1_lllP24rocblas_check_numerics_s.uses_vcc, 1
	.set _ZL49rocblas_check_numerics_sym_herm_tri_matrix_kernelILi16ELi16EPfEvbiT1_lllP24rocblas_check_numerics_s.uses_flat_scratch, 0
	.set _ZL49rocblas_check_numerics_sym_herm_tri_matrix_kernelILi16ELi16EPfEvbiT1_lllP24rocblas_check_numerics_s.has_dyn_sized_stack, 0
	.set _ZL49rocblas_check_numerics_sym_herm_tri_matrix_kernelILi16ELi16EPfEvbiT1_lllP24rocblas_check_numerics_s.has_recursion, 0
	.set _ZL49rocblas_check_numerics_sym_herm_tri_matrix_kernelILi16ELi16EPfEvbiT1_lllP24rocblas_check_numerics_s.has_indirect_call, 0
	.section	.AMDGPU.csdata,"",@progbits
; Kernel info:
; codeLenInByte = 772
; TotalNumSgprs: 15
; NumVgprs: 6
; ScratchSize: 0
; MemoryBound: 0
; FloatMode: 240
; IeeeMode: 1
; LDSByteSize: 0 bytes/workgroup (compile time only)
; SGPRBlocks: 0
; VGPRBlocks: 0
; NumSGPRsForWavesPerEU: 15
; NumVGPRsForWavesPerEU: 6
; NamedBarCnt: 0
; Occupancy: 16
; WaveLimiterHint : 0
; COMPUTE_PGM_RSRC2:SCRATCH_EN: 0
; COMPUTE_PGM_RSRC2:USER_SGPR: 2
; COMPUTE_PGM_RSRC2:TRAP_HANDLER: 0
; COMPUTE_PGM_RSRC2:TGID_X_EN: 1
; COMPUTE_PGM_RSRC2:TGID_Y_EN: 1
; COMPUTE_PGM_RSRC2:TGID_Z_EN: 1
; COMPUTE_PGM_RSRC2:TIDIG_COMP_CNT: 1
	.section	.text._ZL39rocblas_check_numerics_ge_matrix_kernelILi16ELi16EPKPfEviiT1_lllP24rocblas_check_numerics_s,"axG",@progbits,_ZL39rocblas_check_numerics_ge_matrix_kernelILi16ELi16EPKPfEviiT1_lllP24rocblas_check_numerics_s,comdat
	.globl	_ZL39rocblas_check_numerics_ge_matrix_kernelILi16ELi16EPKPfEviiT1_lllP24rocblas_check_numerics_s ; -- Begin function _ZL39rocblas_check_numerics_ge_matrix_kernelILi16ELi16EPKPfEviiT1_lllP24rocblas_check_numerics_s
	.p2align	8
	.type	_ZL39rocblas_check_numerics_ge_matrix_kernelILi16ELi16EPKPfEviiT1_lllP24rocblas_check_numerics_s,@function
_ZL39rocblas_check_numerics_ge_matrix_kernelILi16ELi16EPKPfEviiT1_lllP24rocblas_check_numerics_s: ; @_ZL39rocblas_check_numerics_ge_matrix_kernelILi16ELi16EPKPfEviiT1_lllP24rocblas_check_numerics_s
; %bb.0:
	s_clause 0x1
	s_load_b32 s2, s[0:1], 0x3c
	s_load_b64 s[4:5], s[0:1], 0x0
	s_bfe_u32 s7, ttmp6, 0x40010
	s_bfe_u32 s10, ttmp6, 0x4000c
	s_and_b32 s6, ttmp7, 0xffff
	s_add_co_i32 s7, s7, 1
	s_add_co_i32 s10, s10, 1
	s_bfe_u32 s8, ttmp6, 0x40004
	s_and_b32 s9, ttmp6, 15
	s_mul_i32 s7, s6, s7
	s_mul_i32 s10, ttmp9, s10
	s_getreg_b32 s3, hwreg(HW_REG_IB_STS2, 6, 4)
	v_and_b32_e32 v1, 0x3ff, v0
	v_bfe_u32 v2, v0, 10, 10
	s_add_co_i32 s8, s8, s7
	s_add_co_i32 s9, s9, s10
	s_wait_kmcnt 0x0
	s_lshr_b32 s7, s2, 16
	s_and_b32 s2, s2, 0xffff
	s_cmp_eq_u32 s3, 0
	s_cselect_b32 s9, ttmp9, s9
	s_cselect_b32 s6, s6, s8
	v_mad_u32 v0, s9, s2, v1
	v_mad_u32 v2, s6, s7, v2
	s_delay_alu instid0(VALU_DEP_2) | instskip(NEXT) | instid1(VALU_DEP_2)
	v_cmp_gt_i32_e32 vcc_lo, s4, v0
	v_cmp_gt_i32_e64 s2, s5, v2
	s_and_b32 s2, vcc_lo, s2
	s_delay_alu instid0(SALU_CYCLE_1)
	s_and_saveexec_b32 s4, s2
	s_cbranch_execz .LBB2_10
; %bb.1:
	s_clause 0x1
	s_load_b64 s[8:9], s[0:1], 0x18
	s_load_b128 s[4:7], s[0:1], 0x8
	v_ashrrev_i32_e32 v3, 31, v2
	s_bfe_u32 s2, ttmp6, 0x40014
	s_lshr_b32 s10, ttmp7, 16
	s_add_co_i32 s2, s2, 1
	v_ashrrev_i32_e32 v1, 31, v0
	s_mul_i32 s2, s10, s2
	s_wait_kmcnt 0x0
	v_mul_u64_e32 v[4:5], s[8:9], v[2:3]
	s_bfe_u32 s8, ttmp6, 0x40008
	v_mov_b32_e32 v2, 0
	s_add_co_i32 s8, s8, s2
	s_cmp_eq_u32 s3, 0
	s_cselect_b32 s10, s10, s8
	s_load_b64 s[8:9], s[4:5], s10 offset:0x0 scale_offset
	s_load_b64 s[2:3], s[0:1], 0x28
	s_wait_xcnt 0x0
	s_lshl_b64 s[0:1], s[6:7], 2
	s_wait_kmcnt 0x0
	s_add_nc_u64 s[0:1], s[8:9], s[0:1]
	global_load_u8 v3, v2, s[2:3] offset:1
	v_lshl_add_u64 v[4:5], v[4:5], 2, s[0:1]
	s_delay_alu instid0(VALU_DEP_1)
	v_lshl_add_u64 v[0:1], v[0:1], 2, v[4:5]
	flat_load_b32 v0, v[0:1]
	s_wait_loadcnt 0x1
	v_readfirstlane_b32 s0, v3
	s_bitcmp1_b32 s0, 0
	s_cselect_b32 s0, -1, 0
	s_delay_alu instid0(SALU_CYCLE_1) | instskip(SKIP_3) | instid1(SALU_CYCLE_1)
	s_xor_b32 s0, s0, -1
	s_wait_loadcnt_dscnt 0x0
	v_cmp_eq_f32_e32 vcc_lo, 0, v0
	s_and_b32 s1, s0, vcc_lo
	s_and_saveexec_b32 s0, s1
	s_cbranch_execz .LBB2_3
; %bb.2:
	v_mov_b32_e32 v1, 1
	global_store_b8 v2, v1, s[2:3] offset:1
.LBB2_3:
	s_wait_xcnt 0x0
	s_or_b32 exec_lo, exec_lo, s0
	global_load_u8 v1, v2, s[2:3]
	v_cmp_u_f32_e32 vcc_lo, v0, v0
	s_wait_loadcnt 0x0
	v_readfirstlane_b32 s0, v1
	s_bitcmp1_b32 s0, 0
	s_cselect_b32 s0, -1, 0
	s_delay_alu instid0(SALU_CYCLE_1) | instskip(NEXT) | instid1(SALU_CYCLE_1)
	s_xor_b32 s0, s0, -1
	s_and_b32 s1, s0, vcc_lo
	s_wait_xcnt 0x0
	s_and_saveexec_b32 s0, s1
	s_cbranch_execz .LBB2_5
; %bb.4:
	v_dual_mov_b32 v1, 0 :: v_dual_mov_b32 v2, 1
	global_store_b8 v1, v2, s[2:3]
.LBB2_5:
	s_wait_xcnt 0x0
	s_or_b32 exec_lo, exec_lo, s0
	v_mov_b32_e32 v1, 0
	global_load_u8 v2, v1, s[2:3] offset:2
	s_wait_loadcnt 0x0
	v_readfirstlane_b32 s0, v2
	s_bitcmp1_b32 s0, 0
	v_cmp_class_f32_e64 s0, v0, 0x204
	s_cselect_b32 s1, -1, 0
	s_delay_alu instid0(SALU_CYCLE_1) | instskip(NEXT) | instid1(SALU_CYCLE_1)
	s_xor_b32 s1, s1, -1
	s_and_b32 s1, s1, s0
	s_wait_xcnt 0x0
	s_and_saveexec_b32 s0, s1
	s_cbranch_execz .LBB2_7
; %bb.6:
	v_mov_b32_e32 v2, 1
	global_store_b8 v1, v2, s[2:3] offset:2
.LBB2_7:
	s_wait_xcnt 0x0
	s_or_b32 exec_lo, exec_lo, s0
	global_load_u8 v1, v1, s[2:3] offset:3
	s_wait_loadcnt 0x0
	v_and_b32_e32 v1, 1, v1
	s_delay_alu instid0(VALU_DEP_1)
	v_cmp_eq_u32_e32 vcc_lo, 1, v1
	s_cbranch_vccnz .LBB2_10
; %bb.8:
	v_cmp_gt_f32_e32 vcc_lo, 0, v0
	v_cndmask_b32_e64 v0, v0, -v0, vcc_lo
	s_delay_alu instid0(VALU_DEP_1) | instskip(SKIP_2) | instid1(SALU_CYCLE_1)
	v_cmp_le_f32_e32 vcc_lo, 1, v0
	v_cmp_gt_f32_e64 s0, 0x800000, v0
	s_and_b32 s0, vcc_lo, s0
	s_and_b32 exec_lo, exec_lo, s0
	s_cbranch_execz .LBB2_10
; %bb.9:
	v_dual_mov_b32 v0, 0 :: v_dual_mov_b32 v1, 1
	global_store_b8 v0, v1, s[2:3] offset:3
.LBB2_10:
	s_endpgm
	.section	.rodata,"a",@progbits
	.p2align	6, 0x0
	.amdhsa_kernel _ZL39rocblas_check_numerics_ge_matrix_kernelILi16ELi16EPKPfEviiT1_lllP24rocblas_check_numerics_s
		.amdhsa_group_segment_fixed_size 0
		.amdhsa_private_segment_fixed_size 0
		.amdhsa_kernarg_size 304
		.amdhsa_user_sgpr_count 2
		.amdhsa_user_sgpr_dispatch_ptr 0
		.amdhsa_user_sgpr_queue_ptr 0
		.amdhsa_user_sgpr_kernarg_segment_ptr 1
		.amdhsa_user_sgpr_dispatch_id 0
		.amdhsa_user_sgpr_kernarg_preload_length 0
		.amdhsa_user_sgpr_kernarg_preload_offset 0
		.amdhsa_user_sgpr_private_segment_size 0
		.amdhsa_wavefront_size32 1
		.amdhsa_uses_dynamic_stack 0
		.amdhsa_enable_private_segment 0
		.amdhsa_system_sgpr_workgroup_id_x 1
		.amdhsa_system_sgpr_workgroup_id_y 1
		.amdhsa_system_sgpr_workgroup_id_z 1
		.amdhsa_system_sgpr_workgroup_info 0
		.amdhsa_system_vgpr_workitem_id 1
		.amdhsa_next_free_vgpr 6
		.amdhsa_next_free_sgpr 11
		.amdhsa_named_barrier_count 0
		.amdhsa_reserve_vcc 1
		.amdhsa_float_round_mode_32 0
		.amdhsa_float_round_mode_16_64 0
		.amdhsa_float_denorm_mode_32 3
		.amdhsa_float_denorm_mode_16_64 3
		.amdhsa_fp16_overflow 0
		.amdhsa_memory_ordered 1
		.amdhsa_forward_progress 1
		.amdhsa_inst_pref_size 6
		.amdhsa_round_robin_scheduling 0
		.amdhsa_exception_fp_ieee_invalid_op 0
		.amdhsa_exception_fp_denorm_src 0
		.amdhsa_exception_fp_ieee_div_zero 0
		.amdhsa_exception_fp_ieee_overflow 0
		.amdhsa_exception_fp_ieee_underflow 0
		.amdhsa_exception_fp_ieee_inexact 0
		.amdhsa_exception_int_div_zero 0
	.end_amdhsa_kernel
	.section	.text._ZL39rocblas_check_numerics_ge_matrix_kernelILi16ELi16EPKPfEviiT1_lllP24rocblas_check_numerics_s,"axG",@progbits,_ZL39rocblas_check_numerics_ge_matrix_kernelILi16ELi16EPKPfEviiT1_lllP24rocblas_check_numerics_s,comdat
.Lfunc_end2:
	.size	_ZL39rocblas_check_numerics_ge_matrix_kernelILi16ELi16EPKPfEviiT1_lllP24rocblas_check_numerics_s, .Lfunc_end2-_ZL39rocblas_check_numerics_ge_matrix_kernelILi16ELi16EPKPfEviiT1_lllP24rocblas_check_numerics_s
                                        ; -- End function
	.set _ZL39rocblas_check_numerics_ge_matrix_kernelILi16ELi16EPKPfEviiT1_lllP24rocblas_check_numerics_s.num_vgpr, 6
	.set _ZL39rocblas_check_numerics_ge_matrix_kernelILi16ELi16EPKPfEviiT1_lllP24rocblas_check_numerics_s.num_agpr, 0
	.set _ZL39rocblas_check_numerics_ge_matrix_kernelILi16ELi16EPKPfEviiT1_lllP24rocblas_check_numerics_s.numbered_sgpr, 11
	.set _ZL39rocblas_check_numerics_ge_matrix_kernelILi16ELi16EPKPfEviiT1_lllP24rocblas_check_numerics_s.num_named_barrier, 0
	.set _ZL39rocblas_check_numerics_ge_matrix_kernelILi16ELi16EPKPfEviiT1_lllP24rocblas_check_numerics_s.private_seg_size, 0
	.set _ZL39rocblas_check_numerics_ge_matrix_kernelILi16ELi16EPKPfEviiT1_lllP24rocblas_check_numerics_s.uses_vcc, 1
	.set _ZL39rocblas_check_numerics_ge_matrix_kernelILi16ELi16EPKPfEviiT1_lllP24rocblas_check_numerics_s.uses_flat_scratch, 0
	.set _ZL39rocblas_check_numerics_ge_matrix_kernelILi16ELi16EPKPfEviiT1_lllP24rocblas_check_numerics_s.has_dyn_sized_stack, 0
	.set _ZL39rocblas_check_numerics_ge_matrix_kernelILi16ELi16EPKPfEviiT1_lllP24rocblas_check_numerics_s.has_recursion, 0
	.set _ZL39rocblas_check_numerics_ge_matrix_kernelILi16ELi16EPKPfEviiT1_lllP24rocblas_check_numerics_s.has_indirect_call, 0
	.section	.AMDGPU.csdata,"",@progbits
; Kernel info:
; codeLenInByte = 676
; TotalNumSgprs: 13
; NumVgprs: 6
; ScratchSize: 0
; MemoryBound: 0
; FloatMode: 240
; IeeeMode: 1
; LDSByteSize: 0 bytes/workgroup (compile time only)
; SGPRBlocks: 0
; VGPRBlocks: 0
; NumSGPRsForWavesPerEU: 13
; NumVGPRsForWavesPerEU: 6
; NamedBarCnt: 0
; Occupancy: 16
; WaveLimiterHint : 1
; COMPUTE_PGM_RSRC2:SCRATCH_EN: 0
; COMPUTE_PGM_RSRC2:USER_SGPR: 2
; COMPUTE_PGM_RSRC2:TRAP_HANDLER: 0
; COMPUTE_PGM_RSRC2:TGID_X_EN: 1
; COMPUTE_PGM_RSRC2:TGID_Y_EN: 1
; COMPUTE_PGM_RSRC2:TGID_Z_EN: 1
; COMPUTE_PGM_RSRC2:TIDIG_COMP_CNT: 1
	.section	.text._ZL49rocblas_check_numerics_sym_herm_tri_matrix_kernelILi16ELi16EPKPfEvbiT1_lllP24rocblas_check_numerics_s,"axG",@progbits,_ZL49rocblas_check_numerics_sym_herm_tri_matrix_kernelILi16ELi16EPKPfEvbiT1_lllP24rocblas_check_numerics_s,comdat
	.globl	_ZL49rocblas_check_numerics_sym_herm_tri_matrix_kernelILi16ELi16EPKPfEvbiT1_lllP24rocblas_check_numerics_s ; -- Begin function _ZL49rocblas_check_numerics_sym_herm_tri_matrix_kernelILi16ELi16EPKPfEvbiT1_lllP24rocblas_check_numerics_s
	.p2align	8
	.type	_ZL49rocblas_check_numerics_sym_herm_tri_matrix_kernelILi16ELi16EPKPfEvbiT1_lllP24rocblas_check_numerics_s,@function
_ZL49rocblas_check_numerics_sym_herm_tri_matrix_kernelILi16ELi16EPKPfEvbiT1_lllP24rocblas_check_numerics_s: ; @_ZL49rocblas_check_numerics_sym_herm_tri_matrix_kernelILi16ELi16EPKPfEvbiT1_lllP24rocblas_check_numerics_s
; %bb.0:
	s_clause 0x1
	s_load_b64 s[2:3], s[0:1], 0x0
	s_load_b32 s5, s[0:1], 0x3c
	s_bfe_u32 s7, ttmp6, 0x4000c
	s_bfe_u32 s9, ttmp6, 0x40010
	s_and_b32 s8, ttmp7, 0xffff
	s_add_co_i32 s7, s7, 1
	s_add_co_i32 s9, s9, 1
	s_and_b32 s6, ttmp6, 15
	s_bfe_u32 s10, ttmp6, 0x40004
	s_mul_i32 s7, ttmp9, s7
	s_mul_i32 s9, s8, s9
	s_getreg_b32 s4, hwreg(HW_REG_IB_STS2, 6, 4)
	v_and_b32_e32 v1, 0x3ff, v0
	v_bfe_u32 v2, v0, 10, 10
	s_add_co_i32 s6, s6, s7
	s_add_co_i32 s10, s10, s9
	s_wait_kmcnt 0x0
	s_and_b32 s2, s2, 1
	s_lshr_b32 s7, s5, 16
	s_and_b32 s5, s5, 0xffff
	s_cmp_eq_u32 s4, 0
	s_cselect_b32 s6, ttmp9, s6
	s_cselect_b32 s8, s8, s10
	v_mad_u32 v0, s6, s5, v1
	v_mad_u32 v2, s8, s7, v2
	s_mov_b32 s5, 0
	s_cmp_eq_u32 s2, 0
	s_mov_b32 s2, -1
	s_cbranch_scc1 .LBB3_4
; %bb.1:
	s_and_not1_b32 vcc_lo, exec_lo, s2
	s_cbranch_vccz .LBB3_5
.LBB3_2:
	s_and_saveexec_b32 s2, s5
	s_cbranch_execnz .LBB3_6
.LBB3_3:
	s_endpgm
.LBB3_4:
	s_delay_alu instid0(VALU_DEP_2) | instskip(NEXT) | instid1(VALU_DEP_2)
	v_cmp_gt_i32_e32 vcc_lo, s3, v0
	v_cmp_le_i32_e64 s2, v2, v0
	s_and_b32 s5, vcc_lo, s2
	s_delay_alu instid0(SALU_CYCLE_1)
	s_and_b32 s5, s5, exec_lo
	s_cbranch_execnz .LBB3_2
.LBB3_5:
	s_delay_alu instid0(VALU_DEP_1) | instskip(NEXT) | instid1(VALU_DEP_3)
	v_cmp_gt_i32_e32 vcc_lo, s3, v2
	v_cmp_le_i32_e64 s2, v0, v2
	s_and_not1_b32 s3, s5, exec_lo
	s_and_b32 s2, vcc_lo, s2
	s_delay_alu instid0(SALU_CYCLE_1) | instskip(NEXT) | instid1(SALU_CYCLE_1)
	s_and_b32 s2, s2, exec_lo
	s_or_b32 s5, s3, s2
	s_delay_alu instid0(SALU_CYCLE_1)
	s_and_saveexec_b32 s2, s5
	s_cbranch_execz .LBB3_3
.LBB3_6:
	s_clause 0x1
	s_load_b64 s[2:3], s[0:1], 0x18
	s_load_b128 s[8:11], s[0:1], 0x8
	v_ashrrev_i32_e32 v3, 31, v2
	s_bfe_u32 s5, ttmp6, 0x40014
	s_lshr_b32 s6, ttmp7, 16
	s_add_co_i32 s5, s5, 1
	v_ashrrev_i32_e32 v1, 31, v0
	s_wait_kmcnt 0x0
	v_mul_u64_e32 v[4:5], s[2:3], v[2:3]
	s_mul_i32 s2, s6, s5
	s_bfe_u32 s3, ttmp6, 0x40008
	v_mov_b32_e32 v2, 0
	s_add_co_i32 s3, s3, s2
	s_cmp_eq_u32 s4, 0
	s_cselect_b32 s6, s6, s3
	s_load_b64 s[4:5], s[8:9], s6 offset:0x0 scale_offset
	s_load_b64 s[2:3], s[0:1], 0x28
	s_wait_xcnt 0x0
	s_lshl_b64 s[0:1], s[10:11], 2
	s_wait_kmcnt 0x0
	s_add_nc_u64 s[0:1], s[4:5], s[0:1]
	global_load_u8 v3, v2, s[2:3] offset:1
	v_lshl_add_u64 v[4:5], v[4:5], 2, s[0:1]
	s_delay_alu instid0(VALU_DEP_1)
	v_lshl_add_u64 v[0:1], v[0:1], 2, v[4:5]
	flat_load_b32 v0, v[0:1]
	s_wait_loadcnt 0x1
	v_readfirstlane_b32 s0, v3
	s_bitcmp1_b32 s0, 0
	s_cselect_b32 s0, -1, 0
	s_delay_alu instid0(SALU_CYCLE_1) | instskip(SKIP_3) | instid1(SALU_CYCLE_1)
	s_xor_b32 s0, s0, -1
	s_wait_loadcnt_dscnt 0x0
	v_cmp_eq_f32_e32 vcc_lo, 0, v0
	s_and_b32 s1, s0, vcc_lo
	s_and_saveexec_b32 s0, s1
	s_cbranch_execz .LBB3_8
; %bb.7:
	v_mov_b32_e32 v1, 1
	global_store_b8 v2, v1, s[2:3] offset:1
.LBB3_8:
	s_wait_xcnt 0x0
	s_or_b32 exec_lo, exec_lo, s0
	global_load_u8 v1, v2, s[2:3]
	v_cmp_u_f32_e32 vcc_lo, v0, v0
	s_wait_loadcnt 0x0
	v_readfirstlane_b32 s0, v1
	s_bitcmp1_b32 s0, 0
	s_cselect_b32 s0, -1, 0
	s_delay_alu instid0(SALU_CYCLE_1) | instskip(NEXT) | instid1(SALU_CYCLE_1)
	s_xor_b32 s0, s0, -1
	s_and_b32 s1, s0, vcc_lo
	s_wait_xcnt 0x0
	s_and_saveexec_b32 s0, s1
	s_cbranch_execz .LBB3_10
; %bb.9:
	v_dual_mov_b32 v1, 0 :: v_dual_mov_b32 v2, 1
	global_store_b8 v1, v2, s[2:3]
.LBB3_10:
	s_wait_xcnt 0x0
	s_or_b32 exec_lo, exec_lo, s0
	v_mov_b32_e32 v1, 0
	global_load_u8 v2, v1, s[2:3] offset:2
	s_wait_loadcnt 0x0
	v_readfirstlane_b32 s0, v2
	s_bitcmp1_b32 s0, 0
	v_cmp_class_f32_e64 s0, v0, 0x204
	s_cselect_b32 s1, -1, 0
	s_delay_alu instid0(SALU_CYCLE_1) | instskip(NEXT) | instid1(SALU_CYCLE_1)
	s_xor_b32 s1, s1, -1
	s_and_b32 s1, s1, s0
	s_wait_xcnt 0x0
	s_and_saveexec_b32 s0, s1
	s_cbranch_execz .LBB3_12
; %bb.11:
	v_mov_b32_e32 v2, 1
	global_store_b8 v1, v2, s[2:3] offset:2
.LBB3_12:
	s_wait_xcnt 0x0
	s_or_b32 exec_lo, exec_lo, s0
	global_load_u8 v1, v1, s[2:3] offset:3
	s_wait_loadcnt 0x0
	v_and_b32_e32 v1, 1, v1
	s_delay_alu instid0(VALU_DEP_1)
	v_cmp_eq_u32_e32 vcc_lo, 1, v1
	s_cbranch_vccnz .LBB3_3
; %bb.13:
	v_cmp_gt_f32_e32 vcc_lo, 0, v0
	v_cndmask_b32_e64 v0, v0, -v0, vcc_lo
	s_delay_alu instid0(VALU_DEP_1) | instskip(SKIP_2) | instid1(SALU_CYCLE_1)
	v_cmp_le_f32_e32 vcc_lo, 1, v0
	v_cmp_gt_f32_e64 s0, 0x800000, v0
	s_and_b32 s0, vcc_lo, s0
	s_and_b32 exec_lo, exec_lo, s0
	s_cbranch_execz .LBB3_3
; %bb.14:
	v_dual_mov_b32 v0, 0 :: v_dual_mov_b32 v1, 1
	global_store_b8 v0, v1, s[2:3] offset:3
	s_endpgm
	.section	.rodata,"a",@progbits
	.p2align	6, 0x0
	.amdhsa_kernel _ZL49rocblas_check_numerics_sym_herm_tri_matrix_kernelILi16ELi16EPKPfEvbiT1_lllP24rocblas_check_numerics_s
		.amdhsa_group_segment_fixed_size 0
		.amdhsa_private_segment_fixed_size 0
		.amdhsa_kernarg_size 304
		.amdhsa_user_sgpr_count 2
		.amdhsa_user_sgpr_dispatch_ptr 0
		.amdhsa_user_sgpr_queue_ptr 0
		.amdhsa_user_sgpr_kernarg_segment_ptr 1
		.amdhsa_user_sgpr_dispatch_id 0
		.amdhsa_user_sgpr_kernarg_preload_length 0
		.amdhsa_user_sgpr_kernarg_preload_offset 0
		.amdhsa_user_sgpr_private_segment_size 0
		.amdhsa_wavefront_size32 1
		.amdhsa_uses_dynamic_stack 0
		.amdhsa_enable_private_segment 0
		.amdhsa_system_sgpr_workgroup_id_x 1
		.amdhsa_system_sgpr_workgroup_id_y 1
		.amdhsa_system_sgpr_workgroup_id_z 1
		.amdhsa_system_sgpr_workgroup_info 0
		.amdhsa_system_vgpr_workitem_id 1
		.amdhsa_next_free_vgpr 6
		.amdhsa_next_free_sgpr 12
		.amdhsa_named_barrier_count 0
		.amdhsa_reserve_vcc 1
		.amdhsa_float_round_mode_32 0
		.amdhsa_float_round_mode_16_64 0
		.amdhsa_float_denorm_mode_32 3
		.amdhsa_float_denorm_mode_16_64 3
		.amdhsa_fp16_overflow 0
		.amdhsa_memory_ordered 1
		.amdhsa_forward_progress 1
		.amdhsa_inst_pref_size 6
		.amdhsa_round_robin_scheduling 0
		.amdhsa_exception_fp_ieee_invalid_op 0
		.amdhsa_exception_fp_denorm_src 0
		.amdhsa_exception_fp_ieee_div_zero 0
		.amdhsa_exception_fp_ieee_overflow 0
		.amdhsa_exception_fp_ieee_underflow 0
		.amdhsa_exception_fp_ieee_inexact 0
		.amdhsa_exception_int_div_zero 0
	.end_amdhsa_kernel
	.section	.text._ZL49rocblas_check_numerics_sym_herm_tri_matrix_kernelILi16ELi16EPKPfEvbiT1_lllP24rocblas_check_numerics_s,"axG",@progbits,_ZL49rocblas_check_numerics_sym_herm_tri_matrix_kernelILi16ELi16EPKPfEvbiT1_lllP24rocblas_check_numerics_s,comdat
.Lfunc_end3:
	.size	_ZL49rocblas_check_numerics_sym_herm_tri_matrix_kernelILi16ELi16EPKPfEvbiT1_lllP24rocblas_check_numerics_s, .Lfunc_end3-_ZL49rocblas_check_numerics_sym_herm_tri_matrix_kernelILi16ELi16EPKPfEvbiT1_lllP24rocblas_check_numerics_s
                                        ; -- End function
	.set _ZL49rocblas_check_numerics_sym_herm_tri_matrix_kernelILi16ELi16EPKPfEvbiT1_lllP24rocblas_check_numerics_s.num_vgpr, 6
	.set _ZL49rocblas_check_numerics_sym_herm_tri_matrix_kernelILi16ELi16EPKPfEvbiT1_lllP24rocblas_check_numerics_s.num_agpr, 0
	.set _ZL49rocblas_check_numerics_sym_herm_tri_matrix_kernelILi16ELi16EPKPfEvbiT1_lllP24rocblas_check_numerics_s.numbered_sgpr, 12
	.set _ZL49rocblas_check_numerics_sym_herm_tri_matrix_kernelILi16ELi16EPKPfEvbiT1_lllP24rocblas_check_numerics_s.num_named_barrier, 0
	.set _ZL49rocblas_check_numerics_sym_herm_tri_matrix_kernelILi16ELi16EPKPfEvbiT1_lllP24rocblas_check_numerics_s.private_seg_size, 0
	.set _ZL49rocblas_check_numerics_sym_herm_tri_matrix_kernelILi16ELi16EPKPfEvbiT1_lllP24rocblas_check_numerics_s.uses_vcc, 1
	.set _ZL49rocblas_check_numerics_sym_herm_tri_matrix_kernelILi16ELi16EPKPfEvbiT1_lllP24rocblas_check_numerics_s.uses_flat_scratch, 0
	.set _ZL49rocblas_check_numerics_sym_herm_tri_matrix_kernelILi16ELi16EPKPfEvbiT1_lllP24rocblas_check_numerics_s.has_dyn_sized_stack, 0
	.set _ZL49rocblas_check_numerics_sym_herm_tri_matrix_kernelILi16ELi16EPKPfEvbiT1_lllP24rocblas_check_numerics_s.has_recursion, 0
	.set _ZL49rocblas_check_numerics_sym_herm_tri_matrix_kernelILi16ELi16EPKPfEvbiT1_lllP24rocblas_check_numerics_s.has_indirect_call, 0
	.section	.AMDGPU.csdata,"",@progbits
; Kernel info:
; codeLenInByte = 764
; TotalNumSgprs: 14
; NumVgprs: 6
; ScratchSize: 0
; MemoryBound: 0
; FloatMode: 240
; IeeeMode: 1
; LDSByteSize: 0 bytes/workgroup (compile time only)
; SGPRBlocks: 0
; VGPRBlocks: 0
; NumSGPRsForWavesPerEU: 14
; NumVGPRsForWavesPerEU: 6
; NamedBarCnt: 0
; Occupancy: 16
; WaveLimiterHint : 1
; COMPUTE_PGM_RSRC2:SCRATCH_EN: 0
; COMPUTE_PGM_RSRC2:USER_SGPR: 2
; COMPUTE_PGM_RSRC2:TRAP_HANDLER: 0
; COMPUTE_PGM_RSRC2:TGID_X_EN: 1
; COMPUTE_PGM_RSRC2:TGID_Y_EN: 1
; COMPUTE_PGM_RSRC2:TGID_Z_EN: 1
; COMPUTE_PGM_RSRC2:TIDIG_COMP_CNT: 1
	.section	.text._ZL39rocblas_check_numerics_ge_matrix_kernelILi16ELi16EPKfEviiT1_lllP24rocblas_check_numerics_s,"axG",@progbits,_ZL39rocblas_check_numerics_ge_matrix_kernelILi16ELi16EPKfEviiT1_lllP24rocblas_check_numerics_s,comdat
	.globl	_ZL39rocblas_check_numerics_ge_matrix_kernelILi16ELi16EPKfEviiT1_lllP24rocblas_check_numerics_s ; -- Begin function _ZL39rocblas_check_numerics_ge_matrix_kernelILi16ELi16EPKfEviiT1_lllP24rocblas_check_numerics_s
	.p2align	8
	.type	_ZL39rocblas_check_numerics_ge_matrix_kernelILi16ELi16EPKfEviiT1_lllP24rocblas_check_numerics_s,@function
_ZL39rocblas_check_numerics_ge_matrix_kernelILi16ELi16EPKfEviiT1_lllP24rocblas_check_numerics_s: ; @_ZL39rocblas_check_numerics_ge_matrix_kernelILi16ELi16EPKfEviiT1_lllP24rocblas_check_numerics_s
; %bb.0:
	s_clause 0x1
	s_load_b32 s4, s[0:1], 0x3c
	s_load_b64 s[2:3], s[0:1], 0x0
	s_bfe_u32 s6, ttmp6, 0x40010
	s_bfe_u32 s9, ttmp6, 0x4000c
	s_and_b32 s5, ttmp7, 0xffff
	s_add_co_i32 s6, s6, 1
	s_add_co_i32 s9, s9, 1
	s_bfe_u32 s7, ttmp6, 0x40004
	s_and_b32 s8, ttmp6, 15
	s_mul_i32 s6, s5, s6
	s_mul_i32 s9, ttmp9, s9
	s_getreg_b32 s12, hwreg(HW_REG_IB_STS2, 6, 4)
	v_and_b32_e32 v1, 0x3ff, v0
	v_bfe_u32 v2, v0, 10, 10
	s_add_co_i32 s7, s7, s6
	s_add_co_i32 s8, s8, s9
	s_mov_b32 s13, 0
	s_wait_kmcnt 0x0
	s_lshr_b32 s6, s4, 16
	s_and_b32 s4, s4, 0xffff
	s_cmp_eq_u32 s12, 0
	s_cselect_b32 s8, ttmp9, s8
	s_cselect_b32 s5, s5, s7
	v_mad_u32 v0, s8, s4, v1
	v_mad_u32 v2, s5, s6, v2
	s_delay_alu instid0(VALU_DEP_2) | instskip(NEXT) | instid1(VALU_DEP_2)
	v_cmp_gt_i32_e32 vcc_lo, s2, v0
	v_cmp_gt_i32_e64 s2, s3, v2
	s_and_b32 s2, vcc_lo, s2
	s_delay_alu instid0(SALU_CYCLE_1)
	s_and_saveexec_b32 s3, s2
	s_cbranch_execz .LBB4_10
; %bb.1:
	s_load_b256 s[4:11], s[0:1], 0x8
	v_ashrrev_i32_e32 v3, 31, v2
	s_bfe_u32 s2, ttmp6, 0x40014
	v_ashrrev_i32_e32 v1, 31, v0
	s_wait_kmcnt 0x0
	s_delay_alu instid0(VALU_DEP_2)
	v_mul_u64_e32 v[4:5], s[8:9], v[2:3]
	s_lshr_b32 s8, ttmp7, 16
	s_add_co_i32 s9, s2, 1
	s_load_b64 s[2:3], s[0:1], 0x28
	s_wait_xcnt 0x0
	s_mul_i32 s0, s8, s9
	s_bfe_u32 s1, ttmp6, 0x40008
	v_mov_b32_e32 v2, 0
	s_add_co_i32 s1, s1, s0
	s_cmp_eq_u32 s12, 0
	s_cselect_b32 s12, s8, s1
	s_delay_alu instid0(SALU_CYCLE_1) | instskip(NEXT) | instid1(SALU_CYCLE_1)
	s_mul_u64 s[0:1], s[10:11], s[12:13]
	s_lshl_b64 s[0:1], s[0:1], 2
	s_delay_alu instid0(SALU_CYCLE_1) | instskip(SKIP_1) | instid1(SALU_CYCLE_1)
	s_add_nc_u64 s[0:1], s[4:5], s[0:1]
	s_lshl_b64 s[4:5], s[6:7], 2
	s_add_nc_u64 s[0:1], s[0:1], s[4:5]
	s_wait_kmcnt 0x0
	global_load_u8 v3, v2, s[2:3] offset:1
	v_lshl_add_u64 v[4:5], v[4:5], 2, s[0:1]
	s_delay_alu instid0(VALU_DEP_1)
	v_lshl_add_u64 v[0:1], v[0:1], 2, v[4:5]
	global_load_b32 v0, v[0:1], off
	s_wait_loadcnt 0x1
	v_readfirstlane_b32 s0, v3
	s_bitcmp1_b32 s0, 0
	s_cselect_b32 s0, -1, 0
	s_delay_alu instid0(SALU_CYCLE_1) | instskip(SKIP_3) | instid1(SALU_CYCLE_1)
	s_xor_b32 s0, s0, -1
	s_wait_loadcnt 0x0
	v_cmp_eq_f32_e32 vcc_lo, 0, v0
	s_and_b32 s1, s0, vcc_lo
	s_and_saveexec_b32 s0, s1
	s_cbranch_execz .LBB4_3
; %bb.2:
	v_mov_b32_e32 v1, 1
	global_store_b8 v2, v1, s[2:3] offset:1
.LBB4_3:
	s_wait_xcnt 0x0
	s_or_b32 exec_lo, exec_lo, s0
	global_load_u8 v1, v2, s[2:3]
	v_cmp_u_f32_e32 vcc_lo, v0, v0
	s_wait_loadcnt 0x0
	v_readfirstlane_b32 s0, v1
	s_bitcmp1_b32 s0, 0
	s_cselect_b32 s0, -1, 0
	s_delay_alu instid0(SALU_CYCLE_1) | instskip(NEXT) | instid1(SALU_CYCLE_1)
	s_xor_b32 s0, s0, -1
	s_and_b32 s1, s0, vcc_lo
	s_wait_xcnt 0x0
	s_and_saveexec_b32 s0, s1
	s_cbranch_execz .LBB4_5
; %bb.4:
	v_dual_mov_b32 v1, 0 :: v_dual_mov_b32 v2, 1
	global_store_b8 v1, v2, s[2:3]
.LBB4_5:
	s_wait_xcnt 0x0
	s_or_b32 exec_lo, exec_lo, s0
	v_mov_b32_e32 v1, 0
	global_load_u8 v2, v1, s[2:3] offset:2
	s_wait_loadcnt 0x0
	v_readfirstlane_b32 s0, v2
	s_bitcmp1_b32 s0, 0
	v_cmp_class_f32_e64 s0, v0, 0x204
	s_cselect_b32 s1, -1, 0
	s_delay_alu instid0(SALU_CYCLE_1) | instskip(NEXT) | instid1(SALU_CYCLE_1)
	s_xor_b32 s1, s1, -1
	s_and_b32 s1, s1, s0
	s_wait_xcnt 0x0
	s_and_saveexec_b32 s0, s1
	s_cbranch_execz .LBB4_7
; %bb.6:
	v_mov_b32_e32 v2, 1
	global_store_b8 v1, v2, s[2:3] offset:2
.LBB4_7:
	s_wait_xcnt 0x0
	s_or_b32 exec_lo, exec_lo, s0
	global_load_u8 v1, v1, s[2:3] offset:3
	s_wait_loadcnt 0x0
	v_and_b32_e32 v1, 1, v1
	s_delay_alu instid0(VALU_DEP_1)
	v_cmp_eq_u32_e32 vcc_lo, 1, v1
	s_cbranch_vccnz .LBB4_10
; %bb.8:
	v_cmp_gt_f32_e32 vcc_lo, 0, v0
	v_cndmask_b32_e64 v0, v0, -v0, vcc_lo
	s_delay_alu instid0(VALU_DEP_1) | instskip(SKIP_2) | instid1(SALU_CYCLE_1)
	v_cmp_le_f32_e32 vcc_lo, 1, v0
	v_cmp_gt_f32_e64 s0, 0x800000, v0
	s_and_b32 s0, vcc_lo, s0
	s_and_b32 exec_lo, exec_lo, s0
	s_cbranch_execz .LBB4_10
; %bb.9:
	v_dual_mov_b32 v0, 0 :: v_dual_mov_b32 v1, 1
	global_store_b8 v0, v1, s[2:3] offset:3
.LBB4_10:
	s_endpgm
	.section	.rodata,"a",@progbits
	.p2align	6, 0x0
	.amdhsa_kernel _ZL39rocblas_check_numerics_ge_matrix_kernelILi16ELi16EPKfEviiT1_lllP24rocblas_check_numerics_s
		.amdhsa_group_segment_fixed_size 0
		.amdhsa_private_segment_fixed_size 0
		.amdhsa_kernarg_size 304
		.amdhsa_user_sgpr_count 2
		.amdhsa_user_sgpr_dispatch_ptr 0
		.amdhsa_user_sgpr_queue_ptr 0
		.amdhsa_user_sgpr_kernarg_segment_ptr 1
		.amdhsa_user_sgpr_dispatch_id 0
		.amdhsa_user_sgpr_kernarg_preload_length 0
		.amdhsa_user_sgpr_kernarg_preload_offset 0
		.amdhsa_user_sgpr_private_segment_size 0
		.amdhsa_wavefront_size32 1
		.amdhsa_uses_dynamic_stack 0
		.amdhsa_enable_private_segment 0
		.amdhsa_system_sgpr_workgroup_id_x 1
		.amdhsa_system_sgpr_workgroup_id_y 1
		.amdhsa_system_sgpr_workgroup_id_z 1
		.amdhsa_system_sgpr_workgroup_info 0
		.amdhsa_system_vgpr_workitem_id 1
		.amdhsa_next_free_vgpr 6
		.amdhsa_next_free_sgpr 14
		.amdhsa_named_barrier_count 0
		.amdhsa_reserve_vcc 1
		.amdhsa_float_round_mode_32 0
		.amdhsa_float_round_mode_16_64 0
		.amdhsa_float_denorm_mode_32 3
		.amdhsa_float_denorm_mode_16_64 3
		.amdhsa_fp16_overflow 0
		.amdhsa_memory_ordered 1
		.amdhsa_forward_progress 1
		.amdhsa_inst_pref_size 6
		.amdhsa_round_robin_scheduling 0
		.amdhsa_exception_fp_ieee_invalid_op 0
		.amdhsa_exception_fp_denorm_src 0
		.amdhsa_exception_fp_ieee_div_zero 0
		.amdhsa_exception_fp_ieee_overflow 0
		.amdhsa_exception_fp_ieee_underflow 0
		.amdhsa_exception_fp_ieee_inexact 0
		.amdhsa_exception_int_div_zero 0
	.end_amdhsa_kernel
	.section	.text._ZL39rocblas_check_numerics_ge_matrix_kernelILi16ELi16EPKfEviiT1_lllP24rocblas_check_numerics_s,"axG",@progbits,_ZL39rocblas_check_numerics_ge_matrix_kernelILi16ELi16EPKfEviiT1_lllP24rocblas_check_numerics_s,comdat
.Lfunc_end4:
	.size	_ZL39rocblas_check_numerics_ge_matrix_kernelILi16ELi16EPKfEviiT1_lllP24rocblas_check_numerics_s, .Lfunc_end4-_ZL39rocblas_check_numerics_ge_matrix_kernelILi16ELi16EPKfEviiT1_lllP24rocblas_check_numerics_s
                                        ; -- End function
	.set _ZL39rocblas_check_numerics_ge_matrix_kernelILi16ELi16EPKfEviiT1_lllP24rocblas_check_numerics_s.num_vgpr, 6
	.set _ZL39rocblas_check_numerics_ge_matrix_kernelILi16ELi16EPKfEviiT1_lllP24rocblas_check_numerics_s.num_agpr, 0
	.set _ZL39rocblas_check_numerics_ge_matrix_kernelILi16ELi16EPKfEviiT1_lllP24rocblas_check_numerics_s.numbered_sgpr, 14
	.set _ZL39rocblas_check_numerics_ge_matrix_kernelILi16ELi16EPKfEviiT1_lllP24rocblas_check_numerics_s.num_named_barrier, 0
	.set _ZL39rocblas_check_numerics_ge_matrix_kernelILi16ELi16EPKfEviiT1_lllP24rocblas_check_numerics_s.private_seg_size, 0
	.set _ZL39rocblas_check_numerics_ge_matrix_kernelILi16ELi16EPKfEviiT1_lllP24rocblas_check_numerics_s.uses_vcc, 1
	.set _ZL39rocblas_check_numerics_ge_matrix_kernelILi16ELi16EPKfEviiT1_lllP24rocblas_check_numerics_s.uses_flat_scratch, 0
	.set _ZL39rocblas_check_numerics_ge_matrix_kernelILi16ELi16EPKfEviiT1_lllP24rocblas_check_numerics_s.has_dyn_sized_stack, 0
	.set _ZL39rocblas_check_numerics_ge_matrix_kernelILi16ELi16EPKfEviiT1_lllP24rocblas_check_numerics_s.has_recursion, 0
	.set _ZL39rocblas_check_numerics_ge_matrix_kernelILi16ELi16EPKfEviiT1_lllP24rocblas_check_numerics_s.has_indirect_call, 0
	.section	.AMDGPU.csdata,"",@progbits
; Kernel info:
; codeLenInByte = 684
; TotalNumSgprs: 16
; NumVgprs: 6
; ScratchSize: 0
; MemoryBound: 0
; FloatMode: 240
; IeeeMode: 1
; LDSByteSize: 0 bytes/workgroup (compile time only)
; SGPRBlocks: 0
; VGPRBlocks: 0
; NumSGPRsForWavesPerEU: 16
; NumVGPRsForWavesPerEU: 6
; NamedBarCnt: 0
; Occupancy: 16
; WaveLimiterHint : 0
; COMPUTE_PGM_RSRC2:SCRATCH_EN: 0
; COMPUTE_PGM_RSRC2:USER_SGPR: 2
; COMPUTE_PGM_RSRC2:TRAP_HANDLER: 0
; COMPUTE_PGM_RSRC2:TGID_X_EN: 1
; COMPUTE_PGM_RSRC2:TGID_Y_EN: 1
; COMPUTE_PGM_RSRC2:TGID_Z_EN: 1
; COMPUTE_PGM_RSRC2:TIDIG_COMP_CNT: 1
	.section	.text._ZL49rocblas_check_numerics_sym_herm_tri_matrix_kernelILi16ELi16EPKfEvbiT1_lllP24rocblas_check_numerics_s,"axG",@progbits,_ZL49rocblas_check_numerics_sym_herm_tri_matrix_kernelILi16ELi16EPKfEvbiT1_lllP24rocblas_check_numerics_s,comdat
	.globl	_ZL49rocblas_check_numerics_sym_herm_tri_matrix_kernelILi16ELi16EPKfEvbiT1_lllP24rocblas_check_numerics_s ; -- Begin function _ZL49rocblas_check_numerics_sym_herm_tri_matrix_kernelILi16ELi16EPKfEvbiT1_lllP24rocblas_check_numerics_s
	.p2align	8
	.type	_ZL49rocblas_check_numerics_sym_herm_tri_matrix_kernelILi16ELi16EPKfEvbiT1_lllP24rocblas_check_numerics_s,@function
_ZL49rocblas_check_numerics_sym_herm_tri_matrix_kernelILi16ELi16EPKfEvbiT1_lllP24rocblas_check_numerics_s: ; @_ZL49rocblas_check_numerics_sym_herm_tri_matrix_kernelILi16ELi16EPKfEvbiT1_lllP24rocblas_check_numerics_s
; %bb.0:
	s_clause 0x1
	s_load_b64 s[2:3], s[0:1], 0x0
	s_load_b32 s4, s[0:1], 0x3c
	s_bfe_u32 s6, ttmp6, 0x4000c
	s_bfe_u32 s8, ttmp6, 0x40010
	s_and_b32 s7, ttmp7, 0xffff
	s_add_co_i32 s6, s6, 1
	s_add_co_i32 s8, s8, 1
	s_and_b32 s5, ttmp6, 15
	s_bfe_u32 s9, ttmp6, 0x40004
	s_mul_i32 s6, ttmp9, s6
	s_mul_i32 s8, s7, s8
	s_getreg_b32 s12, hwreg(HW_REG_IB_STS2, 6, 4)
	v_and_b32_e32 v1, 0x3ff, v0
	v_bfe_u32 v2, v0, 10, 10
	s_add_co_i32 s5, s5, s6
	s_add_co_i32 s9, s9, s8
	s_wait_kmcnt 0x0
	s_and_b32 s2, s2, 1
	s_lshr_b32 s6, s4, 16
	s_and_b32 s4, s4, 0xffff
	s_cmp_eq_u32 s12, 0
	s_cselect_b32 s5, ttmp9, s5
	s_cselect_b32 s7, s7, s9
	v_mad_u32 v0, s5, s4, v1
	v_mad_u32 v2, s7, s6, v2
	s_mov_b32 s4, 0
	s_cmp_eq_u32 s2, 0
	s_mov_b32 s2, -1
	s_cbranch_scc1 .LBB5_4
; %bb.1:
	s_and_not1_b32 vcc_lo, exec_lo, s2
	s_cbranch_vccz .LBB5_5
.LBB5_2:
	s_and_saveexec_b32 s2, s4
	s_cbranch_execnz .LBB5_6
.LBB5_3:
	s_endpgm
.LBB5_4:
	s_delay_alu instid0(VALU_DEP_2) | instskip(NEXT) | instid1(VALU_DEP_2)
	v_cmp_gt_i32_e32 vcc_lo, s3, v0
	v_cmp_le_i32_e64 s2, v2, v0
	s_and_b32 s4, vcc_lo, s2
	s_delay_alu instid0(SALU_CYCLE_1)
	s_and_b32 s4, s4, exec_lo
	s_cbranch_execnz .LBB5_2
.LBB5_5:
	s_delay_alu instid0(VALU_DEP_1) | instskip(NEXT) | instid1(VALU_DEP_3)
	v_cmp_gt_i32_e32 vcc_lo, s3, v2
	v_cmp_le_i32_e64 s2, v0, v2
	s_and_not1_b32 s3, s4, exec_lo
	s_and_b32 s2, vcc_lo, s2
	s_delay_alu instid0(SALU_CYCLE_1) | instskip(NEXT) | instid1(SALU_CYCLE_1)
	s_and_b32 s2, s2, exec_lo
	s_or_b32 s4, s3, s2
	s_delay_alu instid0(SALU_CYCLE_1)
	s_and_saveexec_b32 s2, s4
	s_cbranch_execz .LBB5_3
.LBB5_6:
	s_load_b256 s[4:11], s[0:1], 0x8
	s_delay_alu instid0(VALU_DEP_1) | instskip(SKIP_3) | instid1(VALU_DEP_2)
	v_ashrrev_i32_e32 v3, 31, v2
	s_bfe_u32 s2, ttmp6, 0x40014
	v_ashrrev_i32_e32 v1, 31, v0
	s_wait_kmcnt 0x0
	v_mul_u64_e32 v[4:5], s[8:9], v[2:3]
	s_lshr_b32 s8, ttmp7, 16
	s_add_co_i32 s9, s2, 1
	s_load_b64 s[2:3], s[0:1], 0x28
	s_wait_xcnt 0x0
	s_mul_i32 s0, s8, s9
	s_bfe_u32 s1, ttmp6, 0x40008
	v_mov_b32_e32 v2, 0
	s_add_co_i32 s0, s1, s0
	s_cmp_eq_u32 s12, 0
	s_mov_b32 s1, 0
	s_cselect_b32 s0, s8, s0
	s_delay_alu instid0(SALU_CYCLE_1) | instskip(NEXT) | instid1(SALU_CYCLE_1)
	s_mul_u64 s[0:1], s[10:11], s[0:1]
	s_lshl_b64 s[0:1], s[0:1], 2
	s_delay_alu instid0(SALU_CYCLE_1) | instskip(SKIP_1) | instid1(SALU_CYCLE_1)
	s_add_nc_u64 s[0:1], s[4:5], s[0:1]
	s_lshl_b64 s[4:5], s[6:7], 2
	s_add_nc_u64 s[0:1], s[0:1], s[4:5]
	s_wait_kmcnt 0x0
	global_load_u8 v3, v2, s[2:3] offset:1
	v_lshl_add_u64 v[4:5], v[4:5], 2, s[0:1]
	s_delay_alu instid0(VALU_DEP_1)
	v_lshl_add_u64 v[0:1], v[0:1], 2, v[4:5]
	global_load_b32 v0, v[0:1], off
	s_wait_loadcnt 0x1
	v_readfirstlane_b32 s0, v3
	s_bitcmp1_b32 s0, 0
	s_cselect_b32 s0, -1, 0
	s_delay_alu instid0(SALU_CYCLE_1) | instskip(SKIP_3) | instid1(SALU_CYCLE_1)
	s_xor_b32 s0, s0, -1
	s_wait_loadcnt 0x0
	v_cmp_eq_f32_e32 vcc_lo, 0, v0
	s_and_b32 s1, s0, vcc_lo
	s_and_saveexec_b32 s0, s1
	s_cbranch_execz .LBB5_8
; %bb.7:
	v_mov_b32_e32 v1, 1
	global_store_b8 v2, v1, s[2:3] offset:1
.LBB5_8:
	s_wait_xcnt 0x0
	s_or_b32 exec_lo, exec_lo, s0
	global_load_u8 v1, v2, s[2:3]
	v_cmp_u_f32_e32 vcc_lo, v0, v0
	s_wait_loadcnt 0x0
	v_readfirstlane_b32 s0, v1
	s_bitcmp1_b32 s0, 0
	s_cselect_b32 s0, -1, 0
	s_delay_alu instid0(SALU_CYCLE_1) | instskip(NEXT) | instid1(SALU_CYCLE_1)
	s_xor_b32 s0, s0, -1
	s_and_b32 s1, s0, vcc_lo
	s_wait_xcnt 0x0
	s_and_saveexec_b32 s0, s1
	s_cbranch_execz .LBB5_10
; %bb.9:
	v_dual_mov_b32 v1, 0 :: v_dual_mov_b32 v2, 1
	global_store_b8 v1, v2, s[2:3]
.LBB5_10:
	s_wait_xcnt 0x0
	s_or_b32 exec_lo, exec_lo, s0
	v_mov_b32_e32 v1, 0
	global_load_u8 v2, v1, s[2:3] offset:2
	s_wait_loadcnt 0x0
	v_readfirstlane_b32 s0, v2
	s_bitcmp1_b32 s0, 0
	v_cmp_class_f32_e64 s0, v0, 0x204
	s_cselect_b32 s1, -1, 0
	s_delay_alu instid0(SALU_CYCLE_1) | instskip(NEXT) | instid1(SALU_CYCLE_1)
	s_xor_b32 s1, s1, -1
	s_and_b32 s1, s1, s0
	s_wait_xcnt 0x0
	s_and_saveexec_b32 s0, s1
	s_cbranch_execz .LBB5_12
; %bb.11:
	v_mov_b32_e32 v2, 1
	global_store_b8 v1, v2, s[2:3] offset:2
.LBB5_12:
	s_wait_xcnt 0x0
	s_or_b32 exec_lo, exec_lo, s0
	global_load_u8 v1, v1, s[2:3] offset:3
	s_wait_loadcnt 0x0
	v_and_b32_e32 v1, 1, v1
	s_delay_alu instid0(VALU_DEP_1)
	v_cmp_eq_u32_e32 vcc_lo, 1, v1
	s_cbranch_vccnz .LBB5_3
; %bb.13:
	v_cmp_gt_f32_e32 vcc_lo, 0, v0
	v_cndmask_b32_e64 v0, v0, -v0, vcc_lo
	s_delay_alu instid0(VALU_DEP_1) | instskip(SKIP_2) | instid1(SALU_CYCLE_1)
	v_cmp_le_f32_e32 vcc_lo, 1, v0
	v_cmp_gt_f32_e64 s0, 0x800000, v0
	s_and_b32 s0, vcc_lo, s0
	s_and_b32 exec_lo, exec_lo, s0
	s_cbranch_execz .LBB5_3
; %bb.14:
	v_dual_mov_b32 v0, 0 :: v_dual_mov_b32 v1, 1
	global_store_b8 v0, v1, s[2:3] offset:3
	s_endpgm
	.section	.rodata,"a",@progbits
	.p2align	6, 0x0
	.amdhsa_kernel _ZL49rocblas_check_numerics_sym_herm_tri_matrix_kernelILi16ELi16EPKfEvbiT1_lllP24rocblas_check_numerics_s
		.amdhsa_group_segment_fixed_size 0
		.amdhsa_private_segment_fixed_size 0
		.amdhsa_kernarg_size 304
		.amdhsa_user_sgpr_count 2
		.amdhsa_user_sgpr_dispatch_ptr 0
		.amdhsa_user_sgpr_queue_ptr 0
		.amdhsa_user_sgpr_kernarg_segment_ptr 1
		.amdhsa_user_sgpr_dispatch_id 0
		.amdhsa_user_sgpr_kernarg_preload_length 0
		.amdhsa_user_sgpr_kernarg_preload_offset 0
		.amdhsa_user_sgpr_private_segment_size 0
		.amdhsa_wavefront_size32 1
		.amdhsa_uses_dynamic_stack 0
		.amdhsa_enable_private_segment 0
		.amdhsa_system_sgpr_workgroup_id_x 1
		.amdhsa_system_sgpr_workgroup_id_y 1
		.amdhsa_system_sgpr_workgroup_id_z 1
		.amdhsa_system_sgpr_workgroup_info 0
		.amdhsa_system_vgpr_workitem_id 1
		.amdhsa_next_free_vgpr 6
		.amdhsa_next_free_sgpr 13
		.amdhsa_named_barrier_count 0
		.amdhsa_reserve_vcc 1
		.amdhsa_float_round_mode_32 0
		.amdhsa_float_round_mode_16_64 0
		.amdhsa_float_denorm_mode_32 3
		.amdhsa_float_denorm_mode_16_64 3
		.amdhsa_fp16_overflow 0
		.amdhsa_memory_ordered 1
		.amdhsa_forward_progress 1
		.amdhsa_inst_pref_size 7
		.amdhsa_round_robin_scheduling 0
		.amdhsa_exception_fp_ieee_invalid_op 0
		.amdhsa_exception_fp_denorm_src 0
		.amdhsa_exception_fp_ieee_div_zero 0
		.amdhsa_exception_fp_ieee_overflow 0
		.amdhsa_exception_fp_ieee_underflow 0
		.amdhsa_exception_fp_ieee_inexact 0
		.amdhsa_exception_int_div_zero 0
	.end_amdhsa_kernel
	.section	.text._ZL49rocblas_check_numerics_sym_herm_tri_matrix_kernelILi16ELi16EPKfEvbiT1_lllP24rocblas_check_numerics_s,"axG",@progbits,_ZL49rocblas_check_numerics_sym_herm_tri_matrix_kernelILi16ELi16EPKfEvbiT1_lllP24rocblas_check_numerics_s,comdat
.Lfunc_end5:
	.size	_ZL49rocblas_check_numerics_sym_herm_tri_matrix_kernelILi16ELi16EPKfEvbiT1_lllP24rocblas_check_numerics_s, .Lfunc_end5-_ZL49rocblas_check_numerics_sym_herm_tri_matrix_kernelILi16ELi16EPKfEvbiT1_lllP24rocblas_check_numerics_s
                                        ; -- End function
	.set _ZL49rocblas_check_numerics_sym_herm_tri_matrix_kernelILi16ELi16EPKfEvbiT1_lllP24rocblas_check_numerics_s.num_vgpr, 6
	.set _ZL49rocblas_check_numerics_sym_herm_tri_matrix_kernelILi16ELi16EPKfEvbiT1_lllP24rocblas_check_numerics_s.num_agpr, 0
	.set _ZL49rocblas_check_numerics_sym_herm_tri_matrix_kernelILi16ELi16EPKfEvbiT1_lllP24rocblas_check_numerics_s.numbered_sgpr, 13
	.set _ZL49rocblas_check_numerics_sym_herm_tri_matrix_kernelILi16ELi16EPKfEvbiT1_lllP24rocblas_check_numerics_s.num_named_barrier, 0
	.set _ZL49rocblas_check_numerics_sym_herm_tri_matrix_kernelILi16ELi16EPKfEvbiT1_lllP24rocblas_check_numerics_s.private_seg_size, 0
	.set _ZL49rocblas_check_numerics_sym_herm_tri_matrix_kernelILi16ELi16EPKfEvbiT1_lllP24rocblas_check_numerics_s.uses_vcc, 1
	.set _ZL49rocblas_check_numerics_sym_herm_tri_matrix_kernelILi16ELi16EPKfEvbiT1_lllP24rocblas_check_numerics_s.uses_flat_scratch, 0
	.set _ZL49rocblas_check_numerics_sym_herm_tri_matrix_kernelILi16ELi16EPKfEvbiT1_lllP24rocblas_check_numerics_s.has_dyn_sized_stack, 0
	.set _ZL49rocblas_check_numerics_sym_herm_tri_matrix_kernelILi16ELi16EPKfEvbiT1_lllP24rocblas_check_numerics_s.has_recursion, 0
	.set _ZL49rocblas_check_numerics_sym_herm_tri_matrix_kernelILi16ELi16EPKfEvbiT1_lllP24rocblas_check_numerics_s.has_indirect_call, 0
	.section	.AMDGPU.csdata,"",@progbits
; Kernel info:
; codeLenInByte = 772
; TotalNumSgprs: 15
; NumVgprs: 6
; ScratchSize: 0
; MemoryBound: 0
; FloatMode: 240
; IeeeMode: 1
; LDSByteSize: 0 bytes/workgroup (compile time only)
; SGPRBlocks: 0
; VGPRBlocks: 0
; NumSGPRsForWavesPerEU: 15
; NumVGPRsForWavesPerEU: 6
; NamedBarCnt: 0
; Occupancy: 16
; WaveLimiterHint : 0
; COMPUTE_PGM_RSRC2:SCRATCH_EN: 0
; COMPUTE_PGM_RSRC2:USER_SGPR: 2
; COMPUTE_PGM_RSRC2:TRAP_HANDLER: 0
; COMPUTE_PGM_RSRC2:TGID_X_EN: 1
; COMPUTE_PGM_RSRC2:TGID_Y_EN: 1
; COMPUTE_PGM_RSRC2:TGID_Z_EN: 1
; COMPUTE_PGM_RSRC2:TIDIG_COMP_CNT: 1
	.section	.text._ZL39rocblas_check_numerics_ge_matrix_kernelILi16ELi16EPKPKfEviiT1_lllP24rocblas_check_numerics_s,"axG",@progbits,_ZL39rocblas_check_numerics_ge_matrix_kernelILi16ELi16EPKPKfEviiT1_lllP24rocblas_check_numerics_s,comdat
	.globl	_ZL39rocblas_check_numerics_ge_matrix_kernelILi16ELi16EPKPKfEviiT1_lllP24rocblas_check_numerics_s ; -- Begin function _ZL39rocblas_check_numerics_ge_matrix_kernelILi16ELi16EPKPKfEviiT1_lllP24rocblas_check_numerics_s
	.p2align	8
	.type	_ZL39rocblas_check_numerics_ge_matrix_kernelILi16ELi16EPKPKfEviiT1_lllP24rocblas_check_numerics_s,@function
_ZL39rocblas_check_numerics_ge_matrix_kernelILi16ELi16EPKPKfEviiT1_lllP24rocblas_check_numerics_s: ; @_ZL39rocblas_check_numerics_ge_matrix_kernelILi16ELi16EPKPKfEviiT1_lllP24rocblas_check_numerics_s
; %bb.0:
	s_clause 0x1
	s_load_b32 s2, s[0:1], 0x3c
	s_load_b64 s[4:5], s[0:1], 0x0
	s_bfe_u32 s7, ttmp6, 0x40010
	s_bfe_u32 s10, ttmp6, 0x4000c
	s_and_b32 s6, ttmp7, 0xffff
	s_add_co_i32 s7, s7, 1
	s_add_co_i32 s10, s10, 1
	s_bfe_u32 s8, ttmp6, 0x40004
	s_and_b32 s9, ttmp6, 15
	s_mul_i32 s7, s6, s7
	s_mul_i32 s10, ttmp9, s10
	s_getreg_b32 s3, hwreg(HW_REG_IB_STS2, 6, 4)
	v_and_b32_e32 v1, 0x3ff, v0
	v_bfe_u32 v2, v0, 10, 10
	s_add_co_i32 s8, s8, s7
	s_add_co_i32 s9, s9, s10
	s_wait_kmcnt 0x0
	s_lshr_b32 s7, s2, 16
	s_and_b32 s2, s2, 0xffff
	s_cmp_eq_u32 s3, 0
	s_cselect_b32 s9, ttmp9, s9
	s_cselect_b32 s6, s6, s8
	v_mad_u32 v0, s9, s2, v1
	v_mad_u32 v2, s6, s7, v2
	s_delay_alu instid0(VALU_DEP_2) | instskip(NEXT) | instid1(VALU_DEP_2)
	v_cmp_gt_i32_e32 vcc_lo, s4, v0
	v_cmp_gt_i32_e64 s2, s5, v2
	s_and_b32 s2, vcc_lo, s2
	s_delay_alu instid0(SALU_CYCLE_1)
	s_and_saveexec_b32 s4, s2
	s_cbranch_execz .LBB6_10
; %bb.1:
	s_clause 0x1
	s_load_b64 s[8:9], s[0:1], 0x18
	s_load_b128 s[4:7], s[0:1], 0x8
	v_ashrrev_i32_e32 v3, 31, v2
	s_bfe_u32 s2, ttmp6, 0x40014
	s_lshr_b32 s10, ttmp7, 16
	s_add_co_i32 s2, s2, 1
	v_ashrrev_i32_e32 v1, 31, v0
	s_mul_i32 s2, s10, s2
	s_wait_kmcnt 0x0
	v_mul_u64_e32 v[4:5], s[8:9], v[2:3]
	s_bfe_u32 s8, ttmp6, 0x40008
	v_mov_b32_e32 v2, 0
	s_add_co_i32 s8, s8, s2
	s_cmp_eq_u32 s3, 0
	s_cselect_b32 s10, s10, s8
	s_load_b64 s[8:9], s[4:5], s10 offset:0x0 scale_offset
	s_load_b64 s[2:3], s[0:1], 0x28
	s_wait_xcnt 0x0
	s_lshl_b64 s[0:1], s[6:7], 2
	s_wait_kmcnt 0x0
	s_add_nc_u64 s[0:1], s[8:9], s[0:1]
	global_load_u8 v3, v2, s[2:3] offset:1
	v_lshl_add_u64 v[4:5], v[4:5], 2, s[0:1]
	s_delay_alu instid0(VALU_DEP_1)
	v_lshl_add_u64 v[0:1], v[0:1], 2, v[4:5]
	flat_load_b32 v0, v[0:1]
	s_wait_loadcnt 0x1
	v_readfirstlane_b32 s0, v3
	s_bitcmp1_b32 s0, 0
	s_cselect_b32 s0, -1, 0
	s_delay_alu instid0(SALU_CYCLE_1) | instskip(SKIP_3) | instid1(SALU_CYCLE_1)
	s_xor_b32 s0, s0, -1
	s_wait_loadcnt_dscnt 0x0
	v_cmp_eq_f32_e32 vcc_lo, 0, v0
	s_and_b32 s1, s0, vcc_lo
	s_and_saveexec_b32 s0, s1
	s_cbranch_execz .LBB6_3
; %bb.2:
	v_mov_b32_e32 v1, 1
	global_store_b8 v2, v1, s[2:3] offset:1
.LBB6_3:
	s_wait_xcnt 0x0
	s_or_b32 exec_lo, exec_lo, s0
	global_load_u8 v1, v2, s[2:3]
	v_cmp_u_f32_e32 vcc_lo, v0, v0
	s_wait_loadcnt 0x0
	v_readfirstlane_b32 s0, v1
	s_bitcmp1_b32 s0, 0
	s_cselect_b32 s0, -1, 0
	s_delay_alu instid0(SALU_CYCLE_1) | instskip(NEXT) | instid1(SALU_CYCLE_1)
	s_xor_b32 s0, s0, -1
	s_and_b32 s1, s0, vcc_lo
	s_wait_xcnt 0x0
	s_and_saveexec_b32 s0, s1
	s_cbranch_execz .LBB6_5
; %bb.4:
	v_dual_mov_b32 v1, 0 :: v_dual_mov_b32 v2, 1
	global_store_b8 v1, v2, s[2:3]
.LBB6_5:
	s_wait_xcnt 0x0
	s_or_b32 exec_lo, exec_lo, s0
	v_mov_b32_e32 v1, 0
	global_load_u8 v2, v1, s[2:3] offset:2
	s_wait_loadcnt 0x0
	v_readfirstlane_b32 s0, v2
	s_bitcmp1_b32 s0, 0
	v_cmp_class_f32_e64 s0, v0, 0x204
	s_cselect_b32 s1, -1, 0
	s_delay_alu instid0(SALU_CYCLE_1) | instskip(NEXT) | instid1(SALU_CYCLE_1)
	s_xor_b32 s1, s1, -1
	s_and_b32 s1, s1, s0
	s_wait_xcnt 0x0
	s_and_saveexec_b32 s0, s1
	s_cbranch_execz .LBB6_7
; %bb.6:
	v_mov_b32_e32 v2, 1
	global_store_b8 v1, v2, s[2:3] offset:2
.LBB6_7:
	s_wait_xcnt 0x0
	s_or_b32 exec_lo, exec_lo, s0
	global_load_u8 v1, v1, s[2:3] offset:3
	s_wait_loadcnt 0x0
	v_and_b32_e32 v1, 1, v1
	s_delay_alu instid0(VALU_DEP_1)
	v_cmp_eq_u32_e32 vcc_lo, 1, v1
	s_cbranch_vccnz .LBB6_10
; %bb.8:
	v_cmp_gt_f32_e32 vcc_lo, 0, v0
	v_cndmask_b32_e64 v0, v0, -v0, vcc_lo
	s_delay_alu instid0(VALU_DEP_1) | instskip(SKIP_2) | instid1(SALU_CYCLE_1)
	v_cmp_le_f32_e32 vcc_lo, 1, v0
	v_cmp_gt_f32_e64 s0, 0x800000, v0
	s_and_b32 s0, vcc_lo, s0
	s_and_b32 exec_lo, exec_lo, s0
	s_cbranch_execz .LBB6_10
; %bb.9:
	v_dual_mov_b32 v0, 0 :: v_dual_mov_b32 v1, 1
	global_store_b8 v0, v1, s[2:3] offset:3
.LBB6_10:
	s_endpgm
	.section	.rodata,"a",@progbits
	.p2align	6, 0x0
	.amdhsa_kernel _ZL39rocblas_check_numerics_ge_matrix_kernelILi16ELi16EPKPKfEviiT1_lllP24rocblas_check_numerics_s
		.amdhsa_group_segment_fixed_size 0
		.amdhsa_private_segment_fixed_size 0
		.amdhsa_kernarg_size 304
		.amdhsa_user_sgpr_count 2
		.amdhsa_user_sgpr_dispatch_ptr 0
		.amdhsa_user_sgpr_queue_ptr 0
		.amdhsa_user_sgpr_kernarg_segment_ptr 1
		.amdhsa_user_sgpr_dispatch_id 0
		.amdhsa_user_sgpr_kernarg_preload_length 0
		.amdhsa_user_sgpr_kernarg_preload_offset 0
		.amdhsa_user_sgpr_private_segment_size 0
		.amdhsa_wavefront_size32 1
		.amdhsa_uses_dynamic_stack 0
		.amdhsa_enable_private_segment 0
		.amdhsa_system_sgpr_workgroup_id_x 1
		.amdhsa_system_sgpr_workgroup_id_y 1
		.amdhsa_system_sgpr_workgroup_id_z 1
		.amdhsa_system_sgpr_workgroup_info 0
		.amdhsa_system_vgpr_workitem_id 1
		.amdhsa_next_free_vgpr 6
		.amdhsa_next_free_sgpr 11
		.amdhsa_named_barrier_count 0
		.amdhsa_reserve_vcc 1
		.amdhsa_float_round_mode_32 0
		.amdhsa_float_round_mode_16_64 0
		.amdhsa_float_denorm_mode_32 3
		.amdhsa_float_denorm_mode_16_64 3
		.amdhsa_fp16_overflow 0
		.amdhsa_memory_ordered 1
		.amdhsa_forward_progress 1
		.amdhsa_inst_pref_size 6
		.amdhsa_round_robin_scheduling 0
		.amdhsa_exception_fp_ieee_invalid_op 0
		.amdhsa_exception_fp_denorm_src 0
		.amdhsa_exception_fp_ieee_div_zero 0
		.amdhsa_exception_fp_ieee_overflow 0
		.amdhsa_exception_fp_ieee_underflow 0
		.amdhsa_exception_fp_ieee_inexact 0
		.amdhsa_exception_int_div_zero 0
	.end_amdhsa_kernel
	.section	.text._ZL39rocblas_check_numerics_ge_matrix_kernelILi16ELi16EPKPKfEviiT1_lllP24rocblas_check_numerics_s,"axG",@progbits,_ZL39rocblas_check_numerics_ge_matrix_kernelILi16ELi16EPKPKfEviiT1_lllP24rocblas_check_numerics_s,comdat
.Lfunc_end6:
	.size	_ZL39rocblas_check_numerics_ge_matrix_kernelILi16ELi16EPKPKfEviiT1_lllP24rocblas_check_numerics_s, .Lfunc_end6-_ZL39rocblas_check_numerics_ge_matrix_kernelILi16ELi16EPKPKfEviiT1_lllP24rocblas_check_numerics_s
                                        ; -- End function
	.set _ZL39rocblas_check_numerics_ge_matrix_kernelILi16ELi16EPKPKfEviiT1_lllP24rocblas_check_numerics_s.num_vgpr, 6
	.set _ZL39rocblas_check_numerics_ge_matrix_kernelILi16ELi16EPKPKfEviiT1_lllP24rocblas_check_numerics_s.num_agpr, 0
	.set _ZL39rocblas_check_numerics_ge_matrix_kernelILi16ELi16EPKPKfEviiT1_lllP24rocblas_check_numerics_s.numbered_sgpr, 11
	.set _ZL39rocblas_check_numerics_ge_matrix_kernelILi16ELi16EPKPKfEviiT1_lllP24rocblas_check_numerics_s.num_named_barrier, 0
	.set _ZL39rocblas_check_numerics_ge_matrix_kernelILi16ELi16EPKPKfEviiT1_lllP24rocblas_check_numerics_s.private_seg_size, 0
	.set _ZL39rocblas_check_numerics_ge_matrix_kernelILi16ELi16EPKPKfEviiT1_lllP24rocblas_check_numerics_s.uses_vcc, 1
	.set _ZL39rocblas_check_numerics_ge_matrix_kernelILi16ELi16EPKPKfEviiT1_lllP24rocblas_check_numerics_s.uses_flat_scratch, 0
	.set _ZL39rocblas_check_numerics_ge_matrix_kernelILi16ELi16EPKPKfEviiT1_lllP24rocblas_check_numerics_s.has_dyn_sized_stack, 0
	.set _ZL39rocblas_check_numerics_ge_matrix_kernelILi16ELi16EPKPKfEviiT1_lllP24rocblas_check_numerics_s.has_recursion, 0
	.set _ZL39rocblas_check_numerics_ge_matrix_kernelILi16ELi16EPKPKfEviiT1_lllP24rocblas_check_numerics_s.has_indirect_call, 0
	.section	.AMDGPU.csdata,"",@progbits
; Kernel info:
; codeLenInByte = 676
; TotalNumSgprs: 13
; NumVgprs: 6
; ScratchSize: 0
; MemoryBound: 0
; FloatMode: 240
; IeeeMode: 1
; LDSByteSize: 0 bytes/workgroup (compile time only)
; SGPRBlocks: 0
; VGPRBlocks: 0
; NumSGPRsForWavesPerEU: 13
; NumVGPRsForWavesPerEU: 6
; NamedBarCnt: 0
; Occupancy: 16
; WaveLimiterHint : 1
; COMPUTE_PGM_RSRC2:SCRATCH_EN: 0
; COMPUTE_PGM_RSRC2:USER_SGPR: 2
; COMPUTE_PGM_RSRC2:TRAP_HANDLER: 0
; COMPUTE_PGM_RSRC2:TGID_X_EN: 1
; COMPUTE_PGM_RSRC2:TGID_Y_EN: 1
; COMPUTE_PGM_RSRC2:TGID_Z_EN: 1
; COMPUTE_PGM_RSRC2:TIDIG_COMP_CNT: 1
	.section	.text._ZL49rocblas_check_numerics_sym_herm_tri_matrix_kernelILi16ELi16EPKPKfEvbiT1_lllP24rocblas_check_numerics_s,"axG",@progbits,_ZL49rocblas_check_numerics_sym_herm_tri_matrix_kernelILi16ELi16EPKPKfEvbiT1_lllP24rocblas_check_numerics_s,comdat
	.globl	_ZL49rocblas_check_numerics_sym_herm_tri_matrix_kernelILi16ELi16EPKPKfEvbiT1_lllP24rocblas_check_numerics_s ; -- Begin function _ZL49rocblas_check_numerics_sym_herm_tri_matrix_kernelILi16ELi16EPKPKfEvbiT1_lllP24rocblas_check_numerics_s
	.p2align	8
	.type	_ZL49rocblas_check_numerics_sym_herm_tri_matrix_kernelILi16ELi16EPKPKfEvbiT1_lllP24rocblas_check_numerics_s,@function
_ZL49rocblas_check_numerics_sym_herm_tri_matrix_kernelILi16ELi16EPKPKfEvbiT1_lllP24rocblas_check_numerics_s: ; @_ZL49rocblas_check_numerics_sym_herm_tri_matrix_kernelILi16ELi16EPKPKfEvbiT1_lllP24rocblas_check_numerics_s
; %bb.0:
	s_clause 0x1
	s_load_b64 s[2:3], s[0:1], 0x0
	s_load_b32 s5, s[0:1], 0x3c
	s_bfe_u32 s7, ttmp6, 0x4000c
	s_bfe_u32 s9, ttmp6, 0x40010
	s_and_b32 s8, ttmp7, 0xffff
	s_add_co_i32 s7, s7, 1
	s_add_co_i32 s9, s9, 1
	s_and_b32 s6, ttmp6, 15
	s_bfe_u32 s10, ttmp6, 0x40004
	s_mul_i32 s7, ttmp9, s7
	s_mul_i32 s9, s8, s9
	s_getreg_b32 s4, hwreg(HW_REG_IB_STS2, 6, 4)
	v_and_b32_e32 v1, 0x3ff, v0
	v_bfe_u32 v2, v0, 10, 10
	s_add_co_i32 s6, s6, s7
	s_add_co_i32 s10, s10, s9
	s_wait_kmcnt 0x0
	s_and_b32 s2, s2, 1
	s_lshr_b32 s7, s5, 16
	s_and_b32 s5, s5, 0xffff
	s_cmp_eq_u32 s4, 0
	s_cselect_b32 s6, ttmp9, s6
	s_cselect_b32 s8, s8, s10
	v_mad_u32 v0, s6, s5, v1
	v_mad_u32 v2, s8, s7, v2
	s_mov_b32 s5, 0
	s_cmp_eq_u32 s2, 0
	s_mov_b32 s2, -1
	s_cbranch_scc1 .LBB7_4
; %bb.1:
	s_and_not1_b32 vcc_lo, exec_lo, s2
	s_cbranch_vccz .LBB7_5
.LBB7_2:
	s_and_saveexec_b32 s2, s5
	s_cbranch_execnz .LBB7_6
.LBB7_3:
	s_endpgm
.LBB7_4:
	s_delay_alu instid0(VALU_DEP_2) | instskip(NEXT) | instid1(VALU_DEP_2)
	v_cmp_gt_i32_e32 vcc_lo, s3, v0
	v_cmp_le_i32_e64 s2, v2, v0
	s_and_b32 s5, vcc_lo, s2
	s_delay_alu instid0(SALU_CYCLE_1)
	s_and_b32 s5, s5, exec_lo
	s_cbranch_execnz .LBB7_2
.LBB7_5:
	s_delay_alu instid0(VALU_DEP_1) | instskip(NEXT) | instid1(VALU_DEP_3)
	v_cmp_gt_i32_e32 vcc_lo, s3, v2
	v_cmp_le_i32_e64 s2, v0, v2
	s_and_not1_b32 s3, s5, exec_lo
	s_and_b32 s2, vcc_lo, s2
	s_delay_alu instid0(SALU_CYCLE_1) | instskip(NEXT) | instid1(SALU_CYCLE_1)
	s_and_b32 s2, s2, exec_lo
	s_or_b32 s5, s3, s2
	s_delay_alu instid0(SALU_CYCLE_1)
	s_and_saveexec_b32 s2, s5
	s_cbranch_execz .LBB7_3
.LBB7_6:
	s_clause 0x1
	s_load_b64 s[2:3], s[0:1], 0x18
	s_load_b128 s[8:11], s[0:1], 0x8
	v_ashrrev_i32_e32 v3, 31, v2
	s_bfe_u32 s5, ttmp6, 0x40014
	s_lshr_b32 s6, ttmp7, 16
	s_add_co_i32 s5, s5, 1
	v_ashrrev_i32_e32 v1, 31, v0
	s_wait_kmcnt 0x0
	v_mul_u64_e32 v[4:5], s[2:3], v[2:3]
	s_mul_i32 s2, s6, s5
	s_bfe_u32 s3, ttmp6, 0x40008
	v_mov_b32_e32 v2, 0
	s_add_co_i32 s3, s3, s2
	s_cmp_eq_u32 s4, 0
	s_cselect_b32 s6, s6, s3
	s_load_b64 s[4:5], s[8:9], s6 offset:0x0 scale_offset
	s_load_b64 s[2:3], s[0:1], 0x28
	s_wait_xcnt 0x0
	s_lshl_b64 s[0:1], s[10:11], 2
	s_wait_kmcnt 0x0
	s_add_nc_u64 s[0:1], s[4:5], s[0:1]
	global_load_u8 v3, v2, s[2:3] offset:1
	v_lshl_add_u64 v[4:5], v[4:5], 2, s[0:1]
	s_delay_alu instid0(VALU_DEP_1)
	v_lshl_add_u64 v[0:1], v[0:1], 2, v[4:5]
	flat_load_b32 v0, v[0:1]
	s_wait_loadcnt 0x1
	v_readfirstlane_b32 s0, v3
	s_bitcmp1_b32 s0, 0
	s_cselect_b32 s0, -1, 0
	s_delay_alu instid0(SALU_CYCLE_1) | instskip(SKIP_3) | instid1(SALU_CYCLE_1)
	s_xor_b32 s0, s0, -1
	s_wait_loadcnt_dscnt 0x0
	v_cmp_eq_f32_e32 vcc_lo, 0, v0
	s_and_b32 s1, s0, vcc_lo
	s_and_saveexec_b32 s0, s1
	s_cbranch_execz .LBB7_8
; %bb.7:
	v_mov_b32_e32 v1, 1
	global_store_b8 v2, v1, s[2:3] offset:1
.LBB7_8:
	s_wait_xcnt 0x0
	s_or_b32 exec_lo, exec_lo, s0
	global_load_u8 v1, v2, s[2:3]
	v_cmp_u_f32_e32 vcc_lo, v0, v0
	s_wait_loadcnt 0x0
	v_readfirstlane_b32 s0, v1
	s_bitcmp1_b32 s0, 0
	s_cselect_b32 s0, -1, 0
	s_delay_alu instid0(SALU_CYCLE_1) | instskip(NEXT) | instid1(SALU_CYCLE_1)
	s_xor_b32 s0, s0, -1
	s_and_b32 s1, s0, vcc_lo
	s_wait_xcnt 0x0
	s_and_saveexec_b32 s0, s1
	s_cbranch_execz .LBB7_10
; %bb.9:
	v_dual_mov_b32 v1, 0 :: v_dual_mov_b32 v2, 1
	global_store_b8 v1, v2, s[2:3]
.LBB7_10:
	s_wait_xcnt 0x0
	s_or_b32 exec_lo, exec_lo, s0
	v_mov_b32_e32 v1, 0
	global_load_u8 v2, v1, s[2:3] offset:2
	s_wait_loadcnt 0x0
	v_readfirstlane_b32 s0, v2
	s_bitcmp1_b32 s0, 0
	v_cmp_class_f32_e64 s0, v0, 0x204
	s_cselect_b32 s1, -1, 0
	s_delay_alu instid0(SALU_CYCLE_1) | instskip(NEXT) | instid1(SALU_CYCLE_1)
	s_xor_b32 s1, s1, -1
	s_and_b32 s1, s1, s0
	s_wait_xcnt 0x0
	s_and_saveexec_b32 s0, s1
	s_cbranch_execz .LBB7_12
; %bb.11:
	v_mov_b32_e32 v2, 1
	global_store_b8 v1, v2, s[2:3] offset:2
.LBB7_12:
	s_wait_xcnt 0x0
	s_or_b32 exec_lo, exec_lo, s0
	global_load_u8 v1, v1, s[2:3] offset:3
	s_wait_loadcnt 0x0
	v_and_b32_e32 v1, 1, v1
	s_delay_alu instid0(VALU_DEP_1)
	v_cmp_eq_u32_e32 vcc_lo, 1, v1
	s_cbranch_vccnz .LBB7_3
; %bb.13:
	v_cmp_gt_f32_e32 vcc_lo, 0, v0
	v_cndmask_b32_e64 v0, v0, -v0, vcc_lo
	s_delay_alu instid0(VALU_DEP_1) | instskip(SKIP_2) | instid1(SALU_CYCLE_1)
	v_cmp_le_f32_e32 vcc_lo, 1, v0
	v_cmp_gt_f32_e64 s0, 0x800000, v0
	s_and_b32 s0, vcc_lo, s0
	s_and_b32 exec_lo, exec_lo, s0
	s_cbranch_execz .LBB7_3
; %bb.14:
	v_dual_mov_b32 v0, 0 :: v_dual_mov_b32 v1, 1
	global_store_b8 v0, v1, s[2:3] offset:3
	s_endpgm
	.section	.rodata,"a",@progbits
	.p2align	6, 0x0
	.amdhsa_kernel _ZL49rocblas_check_numerics_sym_herm_tri_matrix_kernelILi16ELi16EPKPKfEvbiT1_lllP24rocblas_check_numerics_s
		.amdhsa_group_segment_fixed_size 0
		.amdhsa_private_segment_fixed_size 0
		.amdhsa_kernarg_size 304
		.amdhsa_user_sgpr_count 2
		.amdhsa_user_sgpr_dispatch_ptr 0
		.amdhsa_user_sgpr_queue_ptr 0
		.amdhsa_user_sgpr_kernarg_segment_ptr 1
		.amdhsa_user_sgpr_dispatch_id 0
		.amdhsa_user_sgpr_kernarg_preload_length 0
		.amdhsa_user_sgpr_kernarg_preload_offset 0
		.amdhsa_user_sgpr_private_segment_size 0
		.amdhsa_wavefront_size32 1
		.amdhsa_uses_dynamic_stack 0
		.amdhsa_enable_private_segment 0
		.amdhsa_system_sgpr_workgroup_id_x 1
		.amdhsa_system_sgpr_workgroup_id_y 1
		.amdhsa_system_sgpr_workgroup_id_z 1
		.amdhsa_system_sgpr_workgroup_info 0
		.amdhsa_system_vgpr_workitem_id 1
		.amdhsa_next_free_vgpr 6
		.amdhsa_next_free_sgpr 12
		.amdhsa_named_barrier_count 0
		.amdhsa_reserve_vcc 1
		.amdhsa_float_round_mode_32 0
		.amdhsa_float_round_mode_16_64 0
		.amdhsa_float_denorm_mode_32 3
		.amdhsa_float_denorm_mode_16_64 3
		.amdhsa_fp16_overflow 0
		.amdhsa_memory_ordered 1
		.amdhsa_forward_progress 1
		.amdhsa_inst_pref_size 6
		.amdhsa_round_robin_scheduling 0
		.amdhsa_exception_fp_ieee_invalid_op 0
		.amdhsa_exception_fp_denorm_src 0
		.amdhsa_exception_fp_ieee_div_zero 0
		.amdhsa_exception_fp_ieee_overflow 0
		.amdhsa_exception_fp_ieee_underflow 0
		.amdhsa_exception_fp_ieee_inexact 0
		.amdhsa_exception_int_div_zero 0
	.end_amdhsa_kernel
	.section	.text._ZL49rocblas_check_numerics_sym_herm_tri_matrix_kernelILi16ELi16EPKPKfEvbiT1_lllP24rocblas_check_numerics_s,"axG",@progbits,_ZL49rocblas_check_numerics_sym_herm_tri_matrix_kernelILi16ELi16EPKPKfEvbiT1_lllP24rocblas_check_numerics_s,comdat
.Lfunc_end7:
	.size	_ZL49rocblas_check_numerics_sym_herm_tri_matrix_kernelILi16ELi16EPKPKfEvbiT1_lllP24rocblas_check_numerics_s, .Lfunc_end7-_ZL49rocblas_check_numerics_sym_herm_tri_matrix_kernelILi16ELi16EPKPKfEvbiT1_lllP24rocblas_check_numerics_s
                                        ; -- End function
	.set _ZL49rocblas_check_numerics_sym_herm_tri_matrix_kernelILi16ELi16EPKPKfEvbiT1_lllP24rocblas_check_numerics_s.num_vgpr, 6
	.set _ZL49rocblas_check_numerics_sym_herm_tri_matrix_kernelILi16ELi16EPKPKfEvbiT1_lllP24rocblas_check_numerics_s.num_agpr, 0
	.set _ZL49rocblas_check_numerics_sym_herm_tri_matrix_kernelILi16ELi16EPKPKfEvbiT1_lllP24rocblas_check_numerics_s.numbered_sgpr, 12
	.set _ZL49rocblas_check_numerics_sym_herm_tri_matrix_kernelILi16ELi16EPKPKfEvbiT1_lllP24rocblas_check_numerics_s.num_named_barrier, 0
	.set _ZL49rocblas_check_numerics_sym_herm_tri_matrix_kernelILi16ELi16EPKPKfEvbiT1_lllP24rocblas_check_numerics_s.private_seg_size, 0
	.set _ZL49rocblas_check_numerics_sym_herm_tri_matrix_kernelILi16ELi16EPKPKfEvbiT1_lllP24rocblas_check_numerics_s.uses_vcc, 1
	.set _ZL49rocblas_check_numerics_sym_herm_tri_matrix_kernelILi16ELi16EPKPKfEvbiT1_lllP24rocblas_check_numerics_s.uses_flat_scratch, 0
	.set _ZL49rocblas_check_numerics_sym_herm_tri_matrix_kernelILi16ELi16EPKPKfEvbiT1_lllP24rocblas_check_numerics_s.has_dyn_sized_stack, 0
	.set _ZL49rocblas_check_numerics_sym_herm_tri_matrix_kernelILi16ELi16EPKPKfEvbiT1_lllP24rocblas_check_numerics_s.has_recursion, 0
	.set _ZL49rocblas_check_numerics_sym_herm_tri_matrix_kernelILi16ELi16EPKPKfEvbiT1_lllP24rocblas_check_numerics_s.has_indirect_call, 0
	.section	.AMDGPU.csdata,"",@progbits
; Kernel info:
; codeLenInByte = 764
; TotalNumSgprs: 14
; NumVgprs: 6
; ScratchSize: 0
; MemoryBound: 0
; FloatMode: 240
; IeeeMode: 1
; LDSByteSize: 0 bytes/workgroup (compile time only)
; SGPRBlocks: 0
; VGPRBlocks: 0
; NumSGPRsForWavesPerEU: 14
; NumVGPRsForWavesPerEU: 6
; NamedBarCnt: 0
; Occupancy: 16
; WaveLimiterHint : 1
; COMPUTE_PGM_RSRC2:SCRATCH_EN: 0
; COMPUTE_PGM_RSRC2:USER_SGPR: 2
; COMPUTE_PGM_RSRC2:TRAP_HANDLER: 0
; COMPUTE_PGM_RSRC2:TGID_X_EN: 1
; COMPUTE_PGM_RSRC2:TGID_Y_EN: 1
; COMPUTE_PGM_RSRC2:TGID_Z_EN: 1
; COMPUTE_PGM_RSRC2:TIDIG_COMP_CNT: 1
	.section	.text._ZL39rocblas_check_numerics_ge_matrix_kernelILi16ELi16EPdEviiT1_lllP24rocblas_check_numerics_s,"axG",@progbits,_ZL39rocblas_check_numerics_ge_matrix_kernelILi16ELi16EPdEviiT1_lllP24rocblas_check_numerics_s,comdat
	.globl	_ZL39rocblas_check_numerics_ge_matrix_kernelILi16ELi16EPdEviiT1_lllP24rocblas_check_numerics_s ; -- Begin function _ZL39rocblas_check_numerics_ge_matrix_kernelILi16ELi16EPdEviiT1_lllP24rocblas_check_numerics_s
	.p2align	8
	.type	_ZL39rocblas_check_numerics_ge_matrix_kernelILi16ELi16EPdEviiT1_lllP24rocblas_check_numerics_s,@function
_ZL39rocblas_check_numerics_ge_matrix_kernelILi16ELi16EPdEviiT1_lllP24rocblas_check_numerics_s: ; @_ZL39rocblas_check_numerics_ge_matrix_kernelILi16ELi16EPdEviiT1_lllP24rocblas_check_numerics_s
; %bb.0:
	s_clause 0x1
	s_load_b32 s5, s[0:1], 0x3c
	s_load_b64 s[2:3], s[0:1], 0x0
	s_bfe_u32 s7, ttmp6, 0x40010
	s_bfe_u32 s10, ttmp6, 0x4000c
	s_and_b32 s6, ttmp7, 0xffff
	s_add_co_i32 s7, s7, 1
	s_add_co_i32 s10, s10, 1
	s_bfe_u32 s8, ttmp6, 0x40004
	s_and_b32 s9, ttmp6, 15
	s_mul_i32 s7, s6, s7
	s_mul_i32 s10, ttmp9, s10
	s_getreg_b32 s4, hwreg(HW_REG_IB_STS2, 6, 4)
	v_and_b32_e32 v1, 0x3ff, v0
	v_bfe_u32 v2, v0, 10, 10
	s_add_co_i32 s8, s8, s7
	s_add_co_i32 s9, s9, s10
	s_wait_kmcnt 0x0
	s_lshr_b32 s7, s5, 16
	s_and_b32 s5, s5, 0xffff
	s_cmp_eq_u32 s4, 0
	s_cselect_b32 s9, ttmp9, s9
	s_cselect_b32 s6, s6, s8
	v_mad_u32 v0, s9, s5, v1
	v_mad_u32 v2, s6, s7, v2
	s_delay_alu instid0(VALU_DEP_2) | instskip(NEXT) | instid1(VALU_DEP_2)
	v_cmp_gt_i32_e32 vcc_lo, s2, v0
	v_cmp_gt_i32_e64 s2, s3, v2
	s_mov_b32 s3, 0
	s_and_b32 s2, vcc_lo, s2
	s_delay_alu instid0(SALU_CYCLE_1)
	s_and_saveexec_b32 s5, s2
	s_cbranch_execz .LBB8_10
; %bb.1:
	s_load_b256 s[8:15], s[0:1], 0x8
	v_dual_ashrrev_i32 v3, 31, v2 :: v_dual_ashrrev_i32 v1, 31, v0
	s_bfe_u32 s2, ttmp6, 0x40014
	s_lshr_b32 s5, ttmp7, 16
	s_add_co_i32 s2, s2, 1
	s_bfe_u32 s6, ttmp6, 0x40008
	s_mul_i32 s2, s5, s2
	s_delay_alu instid0(SALU_CYCLE_1)
	s_add_co_i32 s6, s6, s2
	s_cmp_eq_u32 s4, 0
	s_cselect_b32 s2, s5, s6
	s_wait_kmcnt 0x0
	v_mul_u64_e32 v[2:3], s[12:13], v[2:3]
	s_mul_u64 s[2:3], s[14:15], s[2:3]
	s_lshl_b64 s[4:5], s[10:11], 3
	s_lshl_b64 s[2:3], s[2:3], 3
	s_delay_alu instid0(SALU_CYCLE_1) | instskip(NEXT) | instid1(SALU_CYCLE_1)
	s_add_nc_u64 s[2:3], s[8:9], s[2:3]
	s_add_nc_u64 s[2:3], s[2:3], s[4:5]
	s_delay_alu instid0(VALU_DEP_1) | instid1(SALU_CYCLE_1)
	v_lshl_add_u64 v[2:3], v[2:3], 3, s[2:3]
	s_load_b64 s[2:3], s[0:1], 0x28
	s_delay_alu instid0(VALU_DEP_1)
	v_lshl_add_u64 v[0:1], v[0:1], 3, v[2:3]
	v_mov_b32_e32 v2, 0
	global_load_b64 v[0:1], v[0:1], off
	s_wait_kmcnt 0x0
	global_load_u8 v3, v2, s[2:3] offset:1
	s_wait_loadcnt 0x1
	v_cmp_eq_f64_e32 vcc_lo, 0, v[0:1]
	s_wait_loadcnt 0x0
	v_readfirstlane_b32 s0, v3
	s_bitcmp1_b32 s0, 0
	s_cselect_b32 s0, -1, 0
	s_delay_alu instid0(SALU_CYCLE_1) | instskip(NEXT) | instid1(SALU_CYCLE_1)
	s_xor_b32 s0, s0, -1
	s_and_b32 s1, s0, vcc_lo
	s_delay_alu instid0(SALU_CYCLE_1)
	s_and_saveexec_b32 s0, s1
	s_cbranch_execz .LBB8_3
; %bb.2:
	v_mov_b32_e32 v3, 1
	global_store_b8 v2, v3, s[2:3] offset:1
.LBB8_3:
	s_wait_xcnt 0x0
	s_or_b32 exec_lo, exec_lo, s0
	global_load_u8 v2, v2, s[2:3]
	v_cmp_u_f64_e32 vcc_lo, v[0:1], v[0:1]
	s_wait_loadcnt 0x0
	v_readfirstlane_b32 s0, v2
	s_bitcmp1_b32 s0, 0
	s_cselect_b32 s0, -1, 0
	s_delay_alu instid0(SALU_CYCLE_1) | instskip(NEXT) | instid1(SALU_CYCLE_1)
	s_xor_b32 s0, s0, -1
	s_and_b32 s1, s0, vcc_lo
	s_wait_xcnt 0x0
	s_and_saveexec_b32 s0, s1
	s_cbranch_execz .LBB8_5
; %bb.4:
	v_dual_mov_b32 v2, 0 :: v_dual_mov_b32 v3, 1
	global_store_b8 v2, v3, s[2:3]
.LBB8_5:
	s_wait_xcnt 0x0
	s_or_b32 exec_lo, exec_lo, s0
	v_mov_b32_e32 v2, 0
	v_cmp_class_f64_e64 s0, v[0:1], 0x204
	global_load_u8 v3, v2, s[2:3] offset:2
	s_wait_loadcnt 0x0
	v_readfirstlane_b32 s1, v3
	s_bitcmp1_b32 s1, 0
	s_cselect_b32 s1, -1, 0
	s_delay_alu instid0(SALU_CYCLE_1) | instskip(NEXT) | instid1(SALU_CYCLE_1)
	s_xor_b32 s1, s1, -1
	s_and_b32 s1, s1, s0
	s_wait_xcnt 0x0
	s_and_saveexec_b32 s0, s1
	s_cbranch_execz .LBB8_7
; %bb.6:
	v_mov_b32_e32 v3, 1
	global_store_b8 v2, v3, s[2:3] offset:2
.LBB8_7:
	s_wait_xcnt 0x0
	s_or_b32 exec_lo, exec_lo, s0
	global_load_u8 v2, v2, s[2:3] offset:3
	s_wait_loadcnt 0x0
	v_and_b32_e32 v2, 1, v2
	s_delay_alu instid0(VALU_DEP_1)
	v_cmp_eq_u32_e32 vcc_lo, 1, v2
	s_cbranch_vccnz .LBB8_10
; %bb.8:
	v_cmp_gt_f64_e32 vcc_lo, 0, v[0:1]
	v_xor_b32_e32 v2, 0x80000000, v1
	s_delay_alu instid0(VALU_DEP_1) | instskip(NEXT) | instid1(VALU_DEP_1)
	v_cndmask_b32_e32 v1, v1, v2, vcc_lo
	v_cmp_le_f64_e32 vcc_lo, 1, v[0:1]
	v_cmp_gt_f64_e64 s0, 0x100000, v[0:1]
	s_and_b32 s0, vcc_lo, s0
	s_delay_alu instid0(SALU_CYCLE_1)
	s_and_b32 exec_lo, exec_lo, s0
	s_cbranch_execz .LBB8_10
; %bb.9:
	v_dual_mov_b32 v0, 0 :: v_dual_mov_b32 v1, 1
	global_store_b8 v0, v1, s[2:3] offset:3
.LBB8_10:
	s_endpgm
	.section	.rodata,"a",@progbits
	.p2align	6, 0x0
	.amdhsa_kernel _ZL39rocblas_check_numerics_ge_matrix_kernelILi16ELi16EPdEviiT1_lllP24rocblas_check_numerics_s
		.amdhsa_group_segment_fixed_size 0
		.amdhsa_private_segment_fixed_size 0
		.amdhsa_kernarg_size 304
		.amdhsa_user_sgpr_count 2
		.amdhsa_user_sgpr_dispatch_ptr 0
		.amdhsa_user_sgpr_queue_ptr 0
		.amdhsa_user_sgpr_kernarg_segment_ptr 1
		.amdhsa_user_sgpr_dispatch_id 0
		.amdhsa_user_sgpr_kernarg_preload_length 0
		.amdhsa_user_sgpr_kernarg_preload_offset 0
		.amdhsa_user_sgpr_private_segment_size 0
		.amdhsa_wavefront_size32 1
		.amdhsa_uses_dynamic_stack 0
		.amdhsa_enable_private_segment 0
		.amdhsa_system_sgpr_workgroup_id_x 1
		.amdhsa_system_sgpr_workgroup_id_y 1
		.amdhsa_system_sgpr_workgroup_id_z 1
		.amdhsa_system_sgpr_workgroup_info 0
		.amdhsa_system_vgpr_workitem_id 1
		.amdhsa_next_free_vgpr 4
		.amdhsa_next_free_sgpr 16
		.amdhsa_named_barrier_count 0
		.amdhsa_reserve_vcc 1
		.amdhsa_float_round_mode_32 0
		.amdhsa_float_round_mode_16_64 0
		.amdhsa_float_denorm_mode_32 3
		.amdhsa_float_denorm_mode_16_64 3
		.amdhsa_fp16_overflow 0
		.amdhsa_memory_ordered 1
		.amdhsa_forward_progress 1
		.amdhsa_inst_pref_size 6
		.amdhsa_round_robin_scheduling 0
		.amdhsa_exception_fp_ieee_invalid_op 0
		.amdhsa_exception_fp_denorm_src 0
		.amdhsa_exception_fp_ieee_div_zero 0
		.amdhsa_exception_fp_ieee_overflow 0
		.amdhsa_exception_fp_ieee_underflow 0
		.amdhsa_exception_fp_ieee_inexact 0
		.amdhsa_exception_int_div_zero 0
	.end_amdhsa_kernel
	.section	.text._ZL39rocblas_check_numerics_ge_matrix_kernelILi16ELi16EPdEviiT1_lllP24rocblas_check_numerics_s,"axG",@progbits,_ZL39rocblas_check_numerics_ge_matrix_kernelILi16ELi16EPdEviiT1_lllP24rocblas_check_numerics_s,comdat
.Lfunc_end8:
	.size	_ZL39rocblas_check_numerics_ge_matrix_kernelILi16ELi16EPdEviiT1_lllP24rocblas_check_numerics_s, .Lfunc_end8-_ZL39rocblas_check_numerics_ge_matrix_kernelILi16ELi16EPdEviiT1_lllP24rocblas_check_numerics_s
                                        ; -- End function
	.set _ZL39rocblas_check_numerics_ge_matrix_kernelILi16ELi16EPdEviiT1_lllP24rocblas_check_numerics_s.num_vgpr, 4
	.set _ZL39rocblas_check_numerics_ge_matrix_kernelILi16ELi16EPdEviiT1_lllP24rocblas_check_numerics_s.num_agpr, 0
	.set _ZL39rocblas_check_numerics_ge_matrix_kernelILi16ELi16EPdEviiT1_lllP24rocblas_check_numerics_s.numbered_sgpr, 16
	.set _ZL39rocblas_check_numerics_ge_matrix_kernelILi16ELi16EPdEviiT1_lllP24rocblas_check_numerics_s.num_named_barrier, 0
	.set _ZL39rocblas_check_numerics_ge_matrix_kernelILi16ELi16EPdEviiT1_lllP24rocblas_check_numerics_s.private_seg_size, 0
	.set _ZL39rocblas_check_numerics_ge_matrix_kernelILi16ELi16EPdEviiT1_lllP24rocblas_check_numerics_s.uses_vcc, 1
	.set _ZL39rocblas_check_numerics_ge_matrix_kernelILi16ELi16EPdEviiT1_lllP24rocblas_check_numerics_s.uses_flat_scratch, 0
	.set _ZL39rocblas_check_numerics_ge_matrix_kernelILi16ELi16EPdEviiT1_lllP24rocblas_check_numerics_s.has_dyn_sized_stack, 0
	.set _ZL39rocblas_check_numerics_ge_matrix_kernelILi16ELi16EPdEviiT1_lllP24rocblas_check_numerics_s.has_recursion, 0
	.set _ZL39rocblas_check_numerics_ge_matrix_kernelILi16ELi16EPdEviiT1_lllP24rocblas_check_numerics_s.has_indirect_call, 0
	.section	.AMDGPU.csdata,"",@progbits
; Kernel info:
; codeLenInByte = 696
; TotalNumSgprs: 18
; NumVgprs: 4
; ScratchSize: 0
; MemoryBound: 0
; FloatMode: 240
; IeeeMode: 1
; LDSByteSize: 0 bytes/workgroup (compile time only)
; SGPRBlocks: 0
; VGPRBlocks: 0
; NumSGPRsForWavesPerEU: 18
; NumVGPRsForWavesPerEU: 4
; NamedBarCnt: 0
; Occupancy: 16
; WaveLimiterHint : 0
; COMPUTE_PGM_RSRC2:SCRATCH_EN: 0
; COMPUTE_PGM_RSRC2:USER_SGPR: 2
; COMPUTE_PGM_RSRC2:TRAP_HANDLER: 0
; COMPUTE_PGM_RSRC2:TGID_X_EN: 1
; COMPUTE_PGM_RSRC2:TGID_Y_EN: 1
; COMPUTE_PGM_RSRC2:TGID_Z_EN: 1
; COMPUTE_PGM_RSRC2:TIDIG_COMP_CNT: 1
	.section	.text._ZL49rocblas_check_numerics_sym_herm_tri_matrix_kernelILi16ELi16EPdEvbiT1_lllP24rocblas_check_numerics_s,"axG",@progbits,_ZL49rocblas_check_numerics_sym_herm_tri_matrix_kernelILi16ELi16EPdEvbiT1_lllP24rocblas_check_numerics_s,comdat
	.globl	_ZL49rocblas_check_numerics_sym_herm_tri_matrix_kernelILi16ELi16EPdEvbiT1_lllP24rocblas_check_numerics_s ; -- Begin function _ZL49rocblas_check_numerics_sym_herm_tri_matrix_kernelILi16ELi16EPdEvbiT1_lllP24rocblas_check_numerics_s
	.p2align	8
	.type	_ZL49rocblas_check_numerics_sym_herm_tri_matrix_kernelILi16ELi16EPdEvbiT1_lllP24rocblas_check_numerics_s,@function
_ZL49rocblas_check_numerics_sym_herm_tri_matrix_kernelILi16ELi16EPdEvbiT1_lllP24rocblas_check_numerics_s: ; @_ZL49rocblas_check_numerics_sym_herm_tri_matrix_kernelILi16ELi16EPdEvbiT1_lllP24rocblas_check_numerics_s
; %bb.0:
	s_clause 0x1
	s_load_b64 s[2:3], s[0:1], 0x0
	s_load_b32 s4, s[0:1], 0x3c
	s_bfe_u32 s6, ttmp6, 0x4000c
	s_bfe_u32 s8, ttmp6, 0x40010
	s_and_b32 s7, ttmp7, 0xffff
	s_add_co_i32 s6, s6, 1
	s_add_co_i32 s8, s8, 1
	s_and_b32 s5, ttmp6, 15
	s_bfe_u32 s9, ttmp6, 0x40004
	s_mul_i32 s6, ttmp9, s6
	s_mul_i32 s8, s7, s8
	s_getreg_b32 s12, hwreg(HW_REG_IB_STS2, 6, 4)
	v_and_b32_e32 v1, 0x3ff, v0
	v_bfe_u32 v2, v0, 10, 10
	s_add_co_i32 s5, s5, s6
	s_add_co_i32 s9, s9, s8
	s_wait_kmcnt 0x0
	s_and_b32 s2, s2, 1
	s_lshr_b32 s6, s4, 16
	s_and_b32 s4, s4, 0xffff
	s_cmp_eq_u32 s12, 0
	s_cselect_b32 s5, ttmp9, s5
	s_cselect_b32 s7, s7, s9
	v_mad_u32 v0, s5, s4, v1
	v_mad_u32 v2, s7, s6, v2
	s_mov_b32 s4, 0
	s_cmp_eq_u32 s2, 0
	s_mov_b32 s2, -1
	s_cbranch_scc1 .LBB9_4
; %bb.1:
	s_and_not1_b32 vcc_lo, exec_lo, s2
	s_cbranch_vccz .LBB9_5
.LBB9_2:
	s_and_saveexec_b32 s2, s4
	s_cbranch_execnz .LBB9_6
.LBB9_3:
	s_endpgm
.LBB9_4:
	s_delay_alu instid0(VALU_DEP_2) | instskip(NEXT) | instid1(VALU_DEP_2)
	v_cmp_gt_i32_e32 vcc_lo, s3, v0
	v_cmp_le_i32_e64 s2, v2, v0
	s_and_b32 s4, vcc_lo, s2
	s_delay_alu instid0(SALU_CYCLE_1)
	s_and_b32 s4, s4, exec_lo
	s_cbranch_execnz .LBB9_2
.LBB9_5:
	s_delay_alu instid0(VALU_DEP_1) | instskip(NEXT) | instid1(VALU_DEP_3)
	v_cmp_gt_i32_e32 vcc_lo, s3, v2
	v_cmp_le_i32_e64 s2, v0, v2
	s_and_not1_b32 s3, s4, exec_lo
	s_and_b32 s2, vcc_lo, s2
	s_delay_alu instid0(SALU_CYCLE_1) | instskip(NEXT) | instid1(SALU_CYCLE_1)
	s_and_b32 s2, s2, exec_lo
	s_or_b32 s4, s3, s2
	s_delay_alu instid0(SALU_CYCLE_1)
	s_and_saveexec_b32 s2, s4
	s_cbranch_execz .LBB9_3
.LBB9_6:
	s_load_b256 s[4:11], s[0:1], 0x8
	s_delay_alu instid0(VALU_DEP_1)
	v_dual_ashrrev_i32 v3, 31, v2 :: v_dual_ashrrev_i32 v1, 31, v0
	s_bfe_u32 s2, ttmp6, 0x40014
	s_bfe_u32 s3, ttmp6, 0x40008
	s_add_co_i32 s2, s2, 1
	s_wait_kmcnt 0x0
	v_mul_u64_e32 v[2:3], s[8:9], v[2:3]
	s_lshr_b32 s8, ttmp7, 16
	s_delay_alu instid0(SALU_CYCLE_1) | instskip(NEXT) | instid1(SALU_CYCLE_1)
	s_mul_i32 s2, s8, s2
	s_add_co_i32 s2, s3, s2
	s_cmp_eq_u32 s12, 0
	s_mov_b32 s3, 0
	s_cselect_b32 s2, s8, s2
	s_delay_alu instid0(SALU_CYCLE_1) | instskip(NEXT) | instid1(SALU_CYCLE_1)
	s_mul_u64 s[2:3], s[10:11], s[2:3]
	s_lshl_b64 s[2:3], s[2:3], 3
	s_delay_alu instid0(SALU_CYCLE_1) | instskip(SKIP_1) | instid1(SALU_CYCLE_1)
	s_add_nc_u64 s[2:3], s[4:5], s[2:3]
	s_lshl_b64 s[4:5], s[6:7], 3
	s_add_nc_u64 s[2:3], s[2:3], s[4:5]
	s_delay_alu instid0(VALU_DEP_1) | instid1(SALU_CYCLE_1)
	v_lshl_add_u64 v[2:3], v[2:3], 3, s[2:3]
	s_load_b64 s[2:3], s[0:1], 0x28
	s_delay_alu instid0(VALU_DEP_1)
	v_lshl_add_u64 v[0:1], v[0:1], 3, v[2:3]
	v_mov_b32_e32 v2, 0
	global_load_b64 v[0:1], v[0:1], off
	s_wait_kmcnt 0x0
	global_load_u8 v3, v2, s[2:3] offset:1
	s_wait_loadcnt 0x1
	v_cmp_eq_f64_e32 vcc_lo, 0, v[0:1]
	s_wait_loadcnt 0x0
	v_readfirstlane_b32 s0, v3
	s_bitcmp1_b32 s0, 0
	s_cselect_b32 s0, -1, 0
	s_delay_alu instid0(SALU_CYCLE_1) | instskip(NEXT) | instid1(SALU_CYCLE_1)
	s_xor_b32 s0, s0, -1
	s_and_b32 s1, s0, vcc_lo
	s_delay_alu instid0(SALU_CYCLE_1)
	s_and_saveexec_b32 s0, s1
	s_cbranch_execz .LBB9_8
; %bb.7:
	v_mov_b32_e32 v3, 1
	global_store_b8 v2, v3, s[2:3] offset:1
.LBB9_8:
	s_wait_xcnt 0x0
	s_or_b32 exec_lo, exec_lo, s0
	global_load_u8 v2, v2, s[2:3]
	v_cmp_u_f64_e32 vcc_lo, v[0:1], v[0:1]
	s_wait_loadcnt 0x0
	v_readfirstlane_b32 s0, v2
	s_bitcmp1_b32 s0, 0
	s_cselect_b32 s0, -1, 0
	s_delay_alu instid0(SALU_CYCLE_1) | instskip(NEXT) | instid1(SALU_CYCLE_1)
	s_xor_b32 s0, s0, -1
	s_and_b32 s1, s0, vcc_lo
	s_wait_xcnt 0x0
	s_and_saveexec_b32 s0, s1
	s_cbranch_execz .LBB9_10
; %bb.9:
	v_dual_mov_b32 v2, 0 :: v_dual_mov_b32 v3, 1
	global_store_b8 v2, v3, s[2:3]
.LBB9_10:
	s_wait_xcnt 0x0
	s_or_b32 exec_lo, exec_lo, s0
	v_mov_b32_e32 v2, 0
	v_cmp_class_f64_e64 s0, v[0:1], 0x204
	global_load_u8 v3, v2, s[2:3] offset:2
	s_wait_loadcnt 0x0
	v_readfirstlane_b32 s1, v3
	s_bitcmp1_b32 s1, 0
	s_cselect_b32 s1, -1, 0
	s_delay_alu instid0(SALU_CYCLE_1) | instskip(NEXT) | instid1(SALU_CYCLE_1)
	s_xor_b32 s1, s1, -1
	s_and_b32 s1, s1, s0
	s_wait_xcnt 0x0
	s_and_saveexec_b32 s0, s1
	s_cbranch_execz .LBB9_12
; %bb.11:
	v_mov_b32_e32 v3, 1
	global_store_b8 v2, v3, s[2:3] offset:2
.LBB9_12:
	s_wait_xcnt 0x0
	s_or_b32 exec_lo, exec_lo, s0
	global_load_u8 v2, v2, s[2:3] offset:3
	s_wait_loadcnt 0x0
	v_and_b32_e32 v2, 1, v2
	s_delay_alu instid0(VALU_DEP_1)
	v_cmp_eq_u32_e32 vcc_lo, 1, v2
	s_cbranch_vccnz .LBB9_3
; %bb.13:
	v_cmp_gt_f64_e32 vcc_lo, 0, v[0:1]
	v_xor_b32_e32 v2, 0x80000000, v1
	s_delay_alu instid0(VALU_DEP_1) | instskip(NEXT) | instid1(VALU_DEP_1)
	v_cndmask_b32_e32 v1, v1, v2, vcc_lo
	v_cmp_le_f64_e32 vcc_lo, 1, v[0:1]
	v_cmp_gt_f64_e64 s0, 0x100000, v[0:1]
	s_and_b32 s0, vcc_lo, s0
	s_delay_alu instid0(SALU_CYCLE_1)
	s_and_b32 exec_lo, exec_lo, s0
	s_cbranch_execz .LBB9_3
; %bb.14:
	v_dual_mov_b32 v0, 0 :: v_dual_mov_b32 v1, 1
	global_store_b8 v0, v1, s[2:3] offset:3
	s_endpgm
	.section	.rodata,"a",@progbits
	.p2align	6, 0x0
	.amdhsa_kernel _ZL49rocblas_check_numerics_sym_herm_tri_matrix_kernelILi16ELi16EPdEvbiT1_lllP24rocblas_check_numerics_s
		.amdhsa_group_segment_fixed_size 0
		.amdhsa_private_segment_fixed_size 0
		.amdhsa_kernarg_size 304
		.amdhsa_user_sgpr_count 2
		.amdhsa_user_sgpr_dispatch_ptr 0
		.amdhsa_user_sgpr_queue_ptr 0
		.amdhsa_user_sgpr_kernarg_segment_ptr 1
		.amdhsa_user_sgpr_dispatch_id 0
		.amdhsa_user_sgpr_kernarg_preload_length 0
		.amdhsa_user_sgpr_kernarg_preload_offset 0
		.amdhsa_user_sgpr_private_segment_size 0
		.amdhsa_wavefront_size32 1
		.amdhsa_uses_dynamic_stack 0
		.amdhsa_enable_private_segment 0
		.amdhsa_system_sgpr_workgroup_id_x 1
		.amdhsa_system_sgpr_workgroup_id_y 1
		.amdhsa_system_sgpr_workgroup_id_z 1
		.amdhsa_system_sgpr_workgroup_info 0
		.amdhsa_system_vgpr_workitem_id 1
		.amdhsa_next_free_vgpr 4
		.amdhsa_next_free_sgpr 13
		.amdhsa_named_barrier_count 0
		.amdhsa_reserve_vcc 1
		.amdhsa_float_round_mode_32 0
		.amdhsa_float_round_mode_16_64 0
		.amdhsa_float_denorm_mode_32 3
		.amdhsa_float_denorm_mode_16_64 3
		.amdhsa_fp16_overflow 0
		.amdhsa_memory_ordered 1
		.amdhsa_forward_progress 1
		.amdhsa_inst_pref_size 7
		.amdhsa_round_robin_scheduling 0
		.amdhsa_exception_fp_ieee_invalid_op 0
		.amdhsa_exception_fp_denorm_src 0
		.amdhsa_exception_fp_ieee_div_zero 0
		.amdhsa_exception_fp_ieee_overflow 0
		.amdhsa_exception_fp_ieee_underflow 0
		.amdhsa_exception_fp_ieee_inexact 0
		.amdhsa_exception_int_div_zero 0
	.end_amdhsa_kernel
	.section	.text._ZL49rocblas_check_numerics_sym_herm_tri_matrix_kernelILi16ELi16EPdEvbiT1_lllP24rocblas_check_numerics_s,"axG",@progbits,_ZL49rocblas_check_numerics_sym_herm_tri_matrix_kernelILi16ELi16EPdEvbiT1_lllP24rocblas_check_numerics_s,comdat
.Lfunc_end9:
	.size	_ZL49rocblas_check_numerics_sym_herm_tri_matrix_kernelILi16ELi16EPdEvbiT1_lllP24rocblas_check_numerics_s, .Lfunc_end9-_ZL49rocblas_check_numerics_sym_herm_tri_matrix_kernelILi16ELi16EPdEvbiT1_lllP24rocblas_check_numerics_s
                                        ; -- End function
	.set _ZL49rocblas_check_numerics_sym_herm_tri_matrix_kernelILi16ELi16EPdEvbiT1_lllP24rocblas_check_numerics_s.num_vgpr, 4
	.set _ZL49rocblas_check_numerics_sym_herm_tri_matrix_kernelILi16ELi16EPdEvbiT1_lllP24rocblas_check_numerics_s.num_agpr, 0
	.set _ZL49rocblas_check_numerics_sym_herm_tri_matrix_kernelILi16ELi16EPdEvbiT1_lllP24rocblas_check_numerics_s.numbered_sgpr, 13
	.set _ZL49rocblas_check_numerics_sym_herm_tri_matrix_kernelILi16ELi16EPdEvbiT1_lllP24rocblas_check_numerics_s.num_named_barrier, 0
	.set _ZL49rocblas_check_numerics_sym_herm_tri_matrix_kernelILi16ELi16EPdEvbiT1_lllP24rocblas_check_numerics_s.private_seg_size, 0
	.set _ZL49rocblas_check_numerics_sym_herm_tri_matrix_kernelILi16ELi16EPdEvbiT1_lllP24rocblas_check_numerics_s.uses_vcc, 1
	.set _ZL49rocblas_check_numerics_sym_herm_tri_matrix_kernelILi16ELi16EPdEvbiT1_lllP24rocblas_check_numerics_s.uses_flat_scratch, 0
	.set _ZL49rocblas_check_numerics_sym_herm_tri_matrix_kernelILi16ELi16EPdEvbiT1_lllP24rocblas_check_numerics_s.has_dyn_sized_stack, 0
	.set _ZL49rocblas_check_numerics_sym_herm_tri_matrix_kernelILi16ELi16EPdEvbiT1_lllP24rocblas_check_numerics_s.has_recursion, 0
	.set _ZL49rocblas_check_numerics_sym_herm_tri_matrix_kernelILi16ELi16EPdEvbiT1_lllP24rocblas_check_numerics_s.has_indirect_call, 0
	.section	.AMDGPU.csdata,"",@progbits
; Kernel info:
; codeLenInByte = 792
; TotalNumSgprs: 15
; NumVgprs: 4
; ScratchSize: 0
; MemoryBound: 0
; FloatMode: 240
; IeeeMode: 1
; LDSByteSize: 0 bytes/workgroup (compile time only)
; SGPRBlocks: 0
; VGPRBlocks: 0
; NumSGPRsForWavesPerEU: 15
; NumVGPRsForWavesPerEU: 4
; NamedBarCnt: 0
; Occupancy: 16
; WaveLimiterHint : 0
; COMPUTE_PGM_RSRC2:SCRATCH_EN: 0
; COMPUTE_PGM_RSRC2:USER_SGPR: 2
; COMPUTE_PGM_RSRC2:TRAP_HANDLER: 0
; COMPUTE_PGM_RSRC2:TGID_X_EN: 1
; COMPUTE_PGM_RSRC2:TGID_Y_EN: 1
; COMPUTE_PGM_RSRC2:TGID_Z_EN: 1
; COMPUTE_PGM_RSRC2:TIDIG_COMP_CNT: 1
	.section	.text._ZL39rocblas_check_numerics_ge_matrix_kernelILi16ELi16EPKdEviiT1_lllP24rocblas_check_numerics_s,"axG",@progbits,_ZL39rocblas_check_numerics_ge_matrix_kernelILi16ELi16EPKdEviiT1_lllP24rocblas_check_numerics_s,comdat
	.globl	_ZL39rocblas_check_numerics_ge_matrix_kernelILi16ELi16EPKdEviiT1_lllP24rocblas_check_numerics_s ; -- Begin function _ZL39rocblas_check_numerics_ge_matrix_kernelILi16ELi16EPKdEviiT1_lllP24rocblas_check_numerics_s
	.p2align	8
	.type	_ZL39rocblas_check_numerics_ge_matrix_kernelILi16ELi16EPKdEviiT1_lllP24rocblas_check_numerics_s,@function
_ZL39rocblas_check_numerics_ge_matrix_kernelILi16ELi16EPKdEviiT1_lllP24rocblas_check_numerics_s: ; @_ZL39rocblas_check_numerics_ge_matrix_kernelILi16ELi16EPKdEviiT1_lllP24rocblas_check_numerics_s
; %bb.0:
	s_clause 0x1
	s_load_b32 s5, s[0:1], 0x3c
	s_load_b64 s[2:3], s[0:1], 0x0
	s_bfe_u32 s7, ttmp6, 0x40010
	s_bfe_u32 s10, ttmp6, 0x4000c
	s_and_b32 s6, ttmp7, 0xffff
	s_add_co_i32 s7, s7, 1
	s_add_co_i32 s10, s10, 1
	s_bfe_u32 s8, ttmp6, 0x40004
	s_and_b32 s9, ttmp6, 15
	s_mul_i32 s7, s6, s7
	s_mul_i32 s10, ttmp9, s10
	s_getreg_b32 s4, hwreg(HW_REG_IB_STS2, 6, 4)
	v_and_b32_e32 v1, 0x3ff, v0
	v_bfe_u32 v2, v0, 10, 10
	s_add_co_i32 s8, s8, s7
	s_add_co_i32 s9, s9, s10
	s_wait_kmcnt 0x0
	s_lshr_b32 s7, s5, 16
	s_and_b32 s5, s5, 0xffff
	s_cmp_eq_u32 s4, 0
	s_cselect_b32 s9, ttmp9, s9
	s_cselect_b32 s6, s6, s8
	v_mad_u32 v0, s9, s5, v1
	v_mad_u32 v2, s6, s7, v2
	s_delay_alu instid0(VALU_DEP_2) | instskip(NEXT) | instid1(VALU_DEP_2)
	v_cmp_gt_i32_e32 vcc_lo, s2, v0
	v_cmp_gt_i32_e64 s2, s3, v2
	s_mov_b32 s3, 0
	s_and_b32 s2, vcc_lo, s2
	s_delay_alu instid0(SALU_CYCLE_1)
	s_and_saveexec_b32 s5, s2
	s_cbranch_execz .LBB10_10
; %bb.1:
	s_load_b256 s[8:15], s[0:1], 0x8
	v_dual_ashrrev_i32 v3, 31, v2 :: v_dual_ashrrev_i32 v1, 31, v0
	s_bfe_u32 s2, ttmp6, 0x40014
	s_lshr_b32 s5, ttmp7, 16
	s_add_co_i32 s2, s2, 1
	s_bfe_u32 s6, ttmp6, 0x40008
	s_mul_i32 s2, s5, s2
	s_delay_alu instid0(SALU_CYCLE_1)
	s_add_co_i32 s6, s6, s2
	s_cmp_eq_u32 s4, 0
	s_cselect_b32 s2, s5, s6
	s_wait_kmcnt 0x0
	v_mul_u64_e32 v[2:3], s[12:13], v[2:3]
	s_mul_u64 s[2:3], s[14:15], s[2:3]
	s_lshl_b64 s[4:5], s[10:11], 3
	s_lshl_b64 s[2:3], s[2:3], 3
	s_delay_alu instid0(SALU_CYCLE_1) | instskip(NEXT) | instid1(SALU_CYCLE_1)
	s_add_nc_u64 s[2:3], s[8:9], s[2:3]
	s_add_nc_u64 s[2:3], s[2:3], s[4:5]
	s_delay_alu instid0(VALU_DEP_1) | instid1(SALU_CYCLE_1)
	v_lshl_add_u64 v[2:3], v[2:3], 3, s[2:3]
	s_load_b64 s[2:3], s[0:1], 0x28
	s_delay_alu instid0(VALU_DEP_1)
	v_lshl_add_u64 v[0:1], v[0:1], 3, v[2:3]
	v_mov_b32_e32 v2, 0
	global_load_b64 v[0:1], v[0:1], off
	s_wait_kmcnt 0x0
	global_load_u8 v3, v2, s[2:3] offset:1
	s_wait_loadcnt 0x1
	v_cmp_eq_f64_e32 vcc_lo, 0, v[0:1]
	s_wait_loadcnt 0x0
	v_readfirstlane_b32 s0, v3
	s_bitcmp1_b32 s0, 0
	s_cselect_b32 s0, -1, 0
	s_delay_alu instid0(SALU_CYCLE_1) | instskip(NEXT) | instid1(SALU_CYCLE_1)
	s_xor_b32 s0, s0, -1
	s_and_b32 s1, s0, vcc_lo
	s_delay_alu instid0(SALU_CYCLE_1)
	s_and_saveexec_b32 s0, s1
	s_cbranch_execz .LBB10_3
; %bb.2:
	v_mov_b32_e32 v3, 1
	global_store_b8 v2, v3, s[2:3] offset:1
.LBB10_3:
	s_wait_xcnt 0x0
	s_or_b32 exec_lo, exec_lo, s0
	global_load_u8 v2, v2, s[2:3]
	v_cmp_u_f64_e32 vcc_lo, v[0:1], v[0:1]
	s_wait_loadcnt 0x0
	v_readfirstlane_b32 s0, v2
	s_bitcmp1_b32 s0, 0
	s_cselect_b32 s0, -1, 0
	s_delay_alu instid0(SALU_CYCLE_1) | instskip(NEXT) | instid1(SALU_CYCLE_1)
	s_xor_b32 s0, s0, -1
	s_and_b32 s1, s0, vcc_lo
	s_wait_xcnt 0x0
	s_and_saveexec_b32 s0, s1
	s_cbranch_execz .LBB10_5
; %bb.4:
	v_dual_mov_b32 v2, 0 :: v_dual_mov_b32 v3, 1
	global_store_b8 v2, v3, s[2:3]
.LBB10_5:
	s_wait_xcnt 0x0
	s_or_b32 exec_lo, exec_lo, s0
	v_mov_b32_e32 v2, 0
	v_cmp_class_f64_e64 s0, v[0:1], 0x204
	global_load_u8 v3, v2, s[2:3] offset:2
	s_wait_loadcnt 0x0
	v_readfirstlane_b32 s1, v3
	s_bitcmp1_b32 s1, 0
	s_cselect_b32 s1, -1, 0
	s_delay_alu instid0(SALU_CYCLE_1) | instskip(NEXT) | instid1(SALU_CYCLE_1)
	s_xor_b32 s1, s1, -1
	s_and_b32 s1, s1, s0
	s_wait_xcnt 0x0
	s_and_saveexec_b32 s0, s1
	s_cbranch_execz .LBB10_7
; %bb.6:
	v_mov_b32_e32 v3, 1
	global_store_b8 v2, v3, s[2:3] offset:2
.LBB10_7:
	s_wait_xcnt 0x0
	s_or_b32 exec_lo, exec_lo, s0
	global_load_u8 v2, v2, s[2:3] offset:3
	s_wait_loadcnt 0x0
	v_and_b32_e32 v2, 1, v2
	s_delay_alu instid0(VALU_DEP_1)
	v_cmp_eq_u32_e32 vcc_lo, 1, v2
	s_cbranch_vccnz .LBB10_10
; %bb.8:
	v_cmp_gt_f64_e32 vcc_lo, 0, v[0:1]
	v_xor_b32_e32 v2, 0x80000000, v1
	s_delay_alu instid0(VALU_DEP_1) | instskip(NEXT) | instid1(VALU_DEP_1)
	v_cndmask_b32_e32 v1, v1, v2, vcc_lo
	v_cmp_le_f64_e32 vcc_lo, 1, v[0:1]
	v_cmp_gt_f64_e64 s0, 0x100000, v[0:1]
	s_and_b32 s0, vcc_lo, s0
	s_delay_alu instid0(SALU_CYCLE_1)
	s_and_b32 exec_lo, exec_lo, s0
	s_cbranch_execz .LBB10_10
; %bb.9:
	v_dual_mov_b32 v0, 0 :: v_dual_mov_b32 v1, 1
	global_store_b8 v0, v1, s[2:3] offset:3
.LBB10_10:
	s_endpgm
	.section	.rodata,"a",@progbits
	.p2align	6, 0x0
	.amdhsa_kernel _ZL39rocblas_check_numerics_ge_matrix_kernelILi16ELi16EPKdEviiT1_lllP24rocblas_check_numerics_s
		.amdhsa_group_segment_fixed_size 0
		.amdhsa_private_segment_fixed_size 0
		.amdhsa_kernarg_size 304
		.amdhsa_user_sgpr_count 2
		.amdhsa_user_sgpr_dispatch_ptr 0
		.amdhsa_user_sgpr_queue_ptr 0
		.amdhsa_user_sgpr_kernarg_segment_ptr 1
		.amdhsa_user_sgpr_dispatch_id 0
		.amdhsa_user_sgpr_kernarg_preload_length 0
		.amdhsa_user_sgpr_kernarg_preload_offset 0
		.amdhsa_user_sgpr_private_segment_size 0
		.amdhsa_wavefront_size32 1
		.amdhsa_uses_dynamic_stack 0
		.amdhsa_enable_private_segment 0
		.amdhsa_system_sgpr_workgroup_id_x 1
		.amdhsa_system_sgpr_workgroup_id_y 1
		.amdhsa_system_sgpr_workgroup_id_z 1
		.amdhsa_system_sgpr_workgroup_info 0
		.amdhsa_system_vgpr_workitem_id 1
		.amdhsa_next_free_vgpr 4
		.amdhsa_next_free_sgpr 16
		.amdhsa_named_barrier_count 0
		.amdhsa_reserve_vcc 1
		.amdhsa_float_round_mode_32 0
		.amdhsa_float_round_mode_16_64 0
		.amdhsa_float_denorm_mode_32 3
		.amdhsa_float_denorm_mode_16_64 3
		.amdhsa_fp16_overflow 0
		.amdhsa_memory_ordered 1
		.amdhsa_forward_progress 1
		.amdhsa_inst_pref_size 6
		.amdhsa_round_robin_scheduling 0
		.amdhsa_exception_fp_ieee_invalid_op 0
		.amdhsa_exception_fp_denorm_src 0
		.amdhsa_exception_fp_ieee_div_zero 0
		.amdhsa_exception_fp_ieee_overflow 0
		.amdhsa_exception_fp_ieee_underflow 0
		.amdhsa_exception_fp_ieee_inexact 0
		.amdhsa_exception_int_div_zero 0
	.end_amdhsa_kernel
	.section	.text._ZL39rocblas_check_numerics_ge_matrix_kernelILi16ELi16EPKdEviiT1_lllP24rocblas_check_numerics_s,"axG",@progbits,_ZL39rocblas_check_numerics_ge_matrix_kernelILi16ELi16EPKdEviiT1_lllP24rocblas_check_numerics_s,comdat
.Lfunc_end10:
	.size	_ZL39rocblas_check_numerics_ge_matrix_kernelILi16ELi16EPKdEviiT1_lllP24rocblas_check_numerics_s, .Lfunc_end10-_ZL39rocblas_check_numerics_ge_matrix_kernelILi16ELi16EPKdEviiT1_lllP24rocblas_check_numerics_s
                                        ; -- End function
	.set _ZL39rocblas_check_numerics_ge_matrix_kernelILi16ELi16EPKdEviiT1_lllP24rocblas_check_numerics_s.num_vgpr, 4
	.set _ZL39rocblas_check_numerics_ge_matrix_kernelILi16ELi16EPKdEviiT1_lllP24rocblas_check_numerics_s.num_agpr, 0
	.set _ZL39rocblas_check_numerics_ge_matrix_kernelILi16ELi16EPKdEviiT1_lllP24rocblas_check_numerics_s.numbered_sgpr, 16
	.set _ZL39rocblas_check_numerics_ge_matrix_kernelILi16ELi16EPKdEviiT1_lllP24rocblas_check_numerics_s.num_named_barrier, 0
	.set _ZL39rocblas_check_numerics_ge_matrix_kernelILi16ELi16EPKdEviiT1_lllP24rocblas_check_numerics_s.private_seg_size, 0
	.set _ZL39rocblas_check_numerics_ge_matrix_kernelILi16ELi16EPKdEviiT1_lllP24rocblas_check_numerics_s.uses_vcc, 1
	.set _ZL39rocblas_check_numerics_ge_matrix_kernelILi16ELi16EPKdEviiT1_lllP24rocblas_check_numerics_s.uses_flat_scratch, 0
	.set _ZL39rocblas_check_numerics_ge_matrix_kernelILi16ELi16EPKdEviiT1_lllP24rocblas_check_numerics_s.has_dyn_sized_stack, 0
	.set _ZL39rocblas_check_numerics_ge_matrix_kernelILi16ELi16EPKdEviiT1_lllP24rocblas_check_numerics_s.has_recursion, 0
	.set _ZL39rocblas_check_numerics_ge_matrix_kernelILi16ELi16EPKdEviiT1_lllP24rocblas_check_numerics_s.has_indirect_call, 0
	.section	.AMDGPU.csdata,"",@progbits
; Kernel info:
; codeLenInByte = 696
; TotalNumSgprs: 18
; NumVgprs: 4
; ScratchSize: 0
; MemoryBound: 0
; FloatMode: 240
; IeeeMode: 1
; LDSByteSize: 0 bytes/workgroup (compile time only)
; SGPRBlocks: 0
; VGPRBlocks: 0
; NumSGPRsForWavesPerEU: 18
; NumVGPRsForWavesPerEU: 4
; NamedBarCnt: 0
; Occupancy: 16
; WaveLimiterHint : 0
; COMPUTE_PGM_RSRC2:SCRATCH_EN: 0
; COMPUTE_PGM_RSRC2:USER_SGPR: 2
; COMPUTE_PGM_RSRC2:TRAP_HANDLER: 0
; COMPUTE_PGM_RSRC2:TGID_X_EN: 1
; COMPUTE_PGM_RSRC2:TGID_Y_EN: 1
; COMPUTE_PGM_RSRC2:TGID_Z_EN: 1
; COMPUTE_PGM_RSRC2:TIDIG_COMP_CNT: 1
	.section	.text._ZL49rocblas_check_numerics_sym_herm_tri_matrix_kernelILi16ELi16EPKdEvbiT1_lllP24rocblas_check_numerics_s,"axG",@progbits,_ZL49rocblas_check_numerics_sym_herm_tri_matrix_kernelILi16ELi16EPKdEvbiT1_lllP24rocblas_check_numerics_s,comdat
	.globl	_ZL49rocblas_check_numerics_sym_herm_tri_matrix_kernelILi16ELi16EPKdEvbiT1_lllP24rocblas_check_numerics_s ; -- Begin function _ZL49rocblas_check_numerics_sym_herm_tri_matrix_kernelILi16ELi16EPKdEvbiT1_lllP24rocblas_check_numerics_s
	.p2align	8
	.type	_ZL49rocblas_check_numerics_sym_herm_tri_matrix_kernelILi16ELi16EPKdEvbiT1_lllP24rocblas_check_numerics_s,@function
_ZL49rocblas_check_numerics_sym_herm_tri_matrix_kernelILi16ELi16EPKdEvbiT1_lllP24rocblas_check_numerics_s: ; @_ZL49rocblas_check_numerics_sym_herm_tri_matrix_kernelILi16ELi16EPKdEvbiT1_lllP24rocblas_check_numerics_s
; %bb.0:
	s_clause 0x1
	s_load_b64 s[2:3], s[0:1], 0x0
	s_load_b32 s4, s[0:1], 0x3c
	s_bfe_u32 s6, ttmp6, 0x4000c
	s_bfe_u32 s8, ttmp6, 0x40010
	s_and_b32 s7, ttmp7, 0xffff
	s_add_co_i32 s6, s6, 1
	s_add_co_i32 s8, s8, 1
	s_and_b32 s5, ttmp6, 15
	s_bfe_u32 s9, ttmp6, 0x40004
	s_mul_i32 s6, ttmp9, s6
	s_mul_i32 s8, s7, s8
	s_getreg_b32 s12, hwreg(HW_REG_IB_STS2, 6, 4)
	v_and_b32_e32 v1, 0x3ff, v0
	v_bfe_u32 v2, v0, 10, 10
	s_add_co_i32 s5, s5, s6
	s_add_co_i32 s9, s9, s8
	s_wait_kmcnt 0x0
	s_and_b32 s2, s2, 1
	s_lshr_b32 s6, s4, 16
	s_and_b32 s4, s4, 0xffff
	s_cmp_eq_u32 s12, 0
	s_cselect_b32 s5, ttmp9, s5
	s_cselect_b32 s7, s7, s9
	v_mad_u32 v0, s5, s4, v1
	v_mad_u32 v2, s7, s6, v2
	s_mov_b32 s4, 0
	s_cmp_eq_u32 s2, 0
	s_mov_b32 s2, -1
	s_cbranch_scc1 .LBB11_4
; %bb.1:
	s_and_not1_b32 vcc_lo, exec_lo, s2
	s_cbranch_vccz .LBB11_5
.LBB11_2:
	s_and_saveexec_b32 s2, s4
	s_cbranch_execnz .LBB11_6
.LBB11_3:
	s_endpgm
.LBB11_4:
	s_delay_alu instid0(VALU_DEP_2) | instskip(NEXT) | instid1(VALU_DEP_2)
	v_cmp_gt_i32_e32 vcc_lo, s3, v0
	v_cmp_le_i32_e64 s2, v2, v0
	s_and_b32 s4, vcc_lo, s2
	s_delay_alu instid0(SALU_CYCLE_1)
	s_and_b32 s4, s4, exec_lo
	s_cbranch_execnz .LBB11_2
.LBB11_5:
	s_delay_alu instid0(VALU_DEP_1) | instskip(NEXT) | instid1(VALU_DEP_3)
	v_cmp_gt_i32_e32 vcc_lo, s3, v2
	v_cmp_le_i32_e64 s2, v0, v2
	s_and_not1_b32 s3, s4, exec_lo
	s_and_b32 s2, vcc_lo, s2
	s_delay_alu instid0(SALU_CYCLE_1) | instskip(NEXT) | instid1(SALU_CYCLE_1)
	s_and_b32 s2, s2, exec_lo
	s_or_b32 s4, s3, s2
	s_delay_alu instid0(SALU_CYCLE_1)
	s_and_saveexec_b32 s2, s4
	s_cbranch_execz .LBB11_3
.LBB11_6:
	s_load_b256 s[4:11], s[0:1], 0x8
	s_delay_alu instid0(VALU_DEP_1)
	v_dual_ashrrev_i32 v3, 31, v2 :: v_dual_ashrrev_i32 v1, 31, v0
	s_bfe_u32 s2, ttmp6, 0x40014
	s_bfe_u32 s3, ttmp6, 0x40008
	s_add_co_i32 s2, s2, 1
	s_wait_kmcnt 0x0
	v_mul_u64_e32 v[2:3], s[8:9], v[2:3]
	s_lshr_b32 s8, ttmp7, 16
	s_delay_alu instid0(SALU_CYCLE_1) | instskip(NEXT) | instid1(SALU_CYCLE_1)
	s_mul_i32 s2, s8, s2
	s_add_co_i32 s2, s3, s2
	s_cmp_eq_u32 s12, 0
	s_mov_b32 s3, 0
	s_cselect_b32 s2, s8, s2
	s_delay_alu instid0(SALU_CYCLE_1) | instskip(NEXT) | instid1(SALU_CYCLE_1)
	s_mul_u64 s[2:3], s[10:11], s[2:3]
	s_lshl_b64 s[2:3], s[2:3], 3
	s_delay_alu instid0(SALU_CYCLE_1) | instskip(SKIP_1) | instid1(SALU_CYCLE_1)
	s_add_nc_u64 s[2:3], s[4:5], s[2:3]
	s_lshl_b64 s[4:5], s[6:7], 3
	s_add_nc_u64 s[2:3], s[2:3], s[4:5]
	s_delay_alu instid0(VALU_DEP_1) | instid1(SALU_CYCLE_1)
	v_lshl_add_u64 v[2:3], v[2:3], 3, s[2:3]
	s_load_b64 s[2:3], s[0:1], 0x28
	s_delay_alu instid0(VALU_DEP_1)
	v_lshl_add_u64 v[0:1], v[0:1], 3, v[2:3]
	v_mov_b32_e32 v2, 0
	global_load_b64 v[0:1], v[0:1], off
	s_wait_kmcnt 0x0
	global_load_u8 v3, v2, s[2:3] offset:1
	s_wait_loadcnt 0x1
	v_cmp_eq_f64_e32 vcc_lo, 0, v[0:1]
	s_wait_loadcnt 0x0
	v_readfirstlane_b32 s0, v3
	s_bitcmp1_b32 s0, 0
	s_cselect_b32 s0, -1, 0
	s_delay_alu instid0(SALU_CYCLE_1) | instskip(NEXT) | instid1(SALU_CYCLE_1)
	s_xor_b32 s0, s0, -1
	s_and_b32 s1, s0, vcc_lo
	s_delay_alu instid0(SALU_CYCLE_1)
	s_and_saveexec_b32 s0, s1
	s_cbranch_execz .LBB11_8
; %bb.7:
	v_mov_b32_e32 v3, 1
	global_store_b8 v2, v3, s[2:3] offset:1
.LBB11_8:
	s_wait_xcnt 0x0
	s_or_b32 exec_lo, exec_lo, s0
	global_load_u8 v2, v2, s[2:3]
	v_cmp_u_f64_e32 vcc_lo, v[0:1], v[0:1]
	s_wait_loadcnt 0x0
	v_readfirstlane_b32 s0, v2
	s_bitcmp1_b32 s0, 0
	s_cselect_b32 s0, -1, 0
	s_delay_alu instid0(SALU_CYCLE_1) | instskip(NEXT) | instid1(SALU_CYCLE_1)
	s_xor_b32 s0, s0, -1
	s_and_b32 s1, s0, vcc_lo
	s_wait_xcnt 0x0
	s_and_saveexec_b32 s0, s1
	s_cbranch_execz .LBB11_10
; %bb.9:
	v_dual_mov_b32 v2, 0 :: v_dual_mov_b32 v3, 1
	global_store_b8 v2, v3, s[2:3]
.LBB11_10:
	s_wait_xcnt 0x0
	s_or_b32 exec_lo, exec_lo, s0
	v_mov_b32_e32 v2, 0
	v_cmp_class_f64_e64 s0, v[0:1], 0x204
	global_load_u8 v3, v2, s[2:3] offset:2
	s_wait_loadcnt 0x0
	v_readfirstlane_b32 s1, v3
	s_bitcmp1_b32 s1, 0
	s_cselect_b32 s1, -1, 0
	s_delay_alu instid0(SALU_CYCLE_1) | instskip(NEXT) | instid1(SALU_CYCLE_1)
	s_xor_b32 s1, s1, -1
	s_and_b32 s1, s1, s0
	s_wait_xcnt 0x0
	s_and_saveexec_b32 s0, s1
	s_cbranch_execz .LBB11_12
; %bb.11:
	v_mov_b32_e32 v3, 1
	global_store_b8 v2, v3, s[2:3] offset:2
.LBB11_12:
	s_wait_xcnt 0x0
	s_or_b32 exec_lo, exec_lo, s0
	global_load_u8 v2, v2, s[2:3] offset:3
	s_wait_loadcnt 0x0
	v_and_b32_e32 v2, 1, v2
	s_delay_alu instid0(VALU_DEP_1)
	v_cmp_eq_u32_e32 vcc_lo, 1, v2
	s_cbranch_vccnz .LBB11_3
; %bb.13:
	v_cmp_gt_f64_e32 vcc_lo, 0, v[0:1]
	v_xor_b32_e32 v2, 0x80000000, v1
	s_delay_alu instid0(VALU_DEP_1) | instskip(NEXT) | instid1(VALU_DEP_1)
	v_cndmask_b32_e32 v1, v1, v2, vcc_lo
	v_cmp_le_f64_e32 vcc_lo, 1, v[0:1]
	v_cmp_gt_f64_e64 s0, 0x100000, v[0:1]
	s_and_b32 s0, vcc_lo, s0
	s_delay_alu instid0(SALU_CYCLE_1)
	s_and_b32 exec_lo, exec_lo, s0
	s_cbranch_execz .LBB11_3
; %bb.14:
	v_dual_mov_b32 v0, 0 :: v_dual_mov_b32 v1, 1
	global_store_b8 v0, v1, s[2:3] offset:3
	s_endpgm
	.section	.rodata,"a",@progbits
	.p2align	6, 0x0
	.amdhsa_kernel _ZL49rocblas_check_numerics_sym_herm_tri_matrix_kernelILi16ELi16EPKdEvbiT1_lllP24rocblas_check_numerics_s
		.amdhsa_group_segment_fixed_size 0
		.amdhsa_private_segment_fixed_size 0
		.amdhsa_kernarg_size 304
		.amdhsa_user_sgpr_count 2
		.amdhsa_user_sgpr_dispatch_ptr 0
		.amdhsa_user_sgpr_queue_ptr 0
		.amdhsa_user_sgpr_kernarg_segment_ptr 1
		.amdhsa_user_sgpr_dispatch_id 0
		.amdhsa_user_sgpr_kernarg_preload_length 0
		.amdhsa_user_sgpr_kernarg_preload_offset 0
		.amdhsa_user_sgpr_private_segment_size 0
		.amdhsa_wavefront_size32 1
		.amdhsa_uses_dynamic_stack 0
		.amdhsa_enable_private_segment 0
		.amdhsa_system_sgpr_workgroup_id_x 1
		.amdhsa_system_sgpr_workgroup_id_y 1
		.amdhsa_system_sgpr_workgroup_id_z 1
		.amdhsa_system_sgpr_workgroup_info 0
		.amdhsa_system_vgpr_workitem_id 1
		.amdhsa_next_free_vgpr 4
		.amdhsa_next_free_sgpr 13
		.amdhsa_named_barrier_count 0
		.amdhsa_reserve_vcc 1
		.amdhsa_float_round_mode_32 0
		.amdhsa_float_round_mode_16_64 0
		.amdhsa_float_denorm_mode_32 3
		.amdhsa_float_denorm_mode_16_64 3
		.amdhsa_fp16_overflow 0
		.amdhsa_memory_ordered 1
		.amdhsa_forward_progress 1
		.amdhsa_inst_pref_size 7
		.amdhsa_round_robin_scheduling 0
		.amdhsa_exception_fp_ieee_invalid_op 0
		.amdhsa_exception_fp_denorm_src 0
		.amdhsa_exception_fp_ieee_div_zero 0
		.amdhsa_exception_fp_ieee_overflow 0
		.amdhsa_exception_fp_ieee_underflow 0
		.amdhsa_exception_fp_ieee_inexact 0
		.amdhsa_exception_int_div_zero 0
	.end_amdhsa_kernel
	.section	.text._ZL49rocblas_check_numerics_sym_herm_tri_matrix_kernelILi16ELi16EPKdEvbiT1_lllP24rocblas_check_numerics_s,"axG",@progbits,_ZL49rocblas_check_numerics_sym_herm_tri_matrix_kernelILi16ELi16EPKdEvbiT1_lllP24rocblas_check_numerics_s,comdat
.Lfunc_end11:
	.size	_ZL49rocblas_check_numerics_sym_herm_tri_matrix_kernelILi16ELi16EPKdEvbiT1_lllP24rocblas_check_numerics_s, .Lfunc_end11-_ZL49rocblas_check_numerics_sym_herm_tri_matrix_kernelILi16ELi16EPKdEvbiT1_lllP24rocblas_check_numerics_s
                                        ; -- End function
	.set _ZL49rocblas_check_numerics_sym_herm_tri_matrix_kernelILi16ELi16EPKdEvbiT1_lllP24rocblas_check_numerics_s.num_vgpr, 4
	.set _ZL49rocblas_check_numerics_sym_herm_tri_matrix_kernelILi16ELi16EPKdEvbiT1_lllP24rocblas_check_numerics_s.num_agpr, 0
	.set _ZL49rocblas_check_numerics_sym_herm_tri_matrix_kernelILi16ELi16EPKdEvbiT1_lllP24rocblas_check_numerics_s.numbered_sgpr, 13
	.set _ZL49rocblas_check_numerics_sym_herm_tri_matrix_kernelILi16ELi16EPKdEvbiT1_lllP24rocblas_check_numerics_s.num_named_barrier, 0
	.set _ZL49rocblas_check_numerics_sym_herm_tri_matrix_kernelILi16ELi16EPKdEvbiT1_lllP24rocblas_check_numerics_s.private_seg_size, 0
	.set _ZL49rocblas_check_numerics_sym_herm_tri_matrix_kernelILi16ELi16EPKdEvbiT1_lllP24rocblas_check_numerics_s.uses_vcc, 1
	.set _ZL49rocblas_check_numerics_sym_herm_tri_matrix_kernelILi16ELi16EPKdEvbiT1_lllP24rocblas_check_numerics_s.uses_flat_scratch, 0
	.set _ZL49rocblas_check_numerics_sym_herm_tri_matrix_kernelILi16ELi16EPKdEvbiT1_lllP24rocblas_check_numerics_s.has_dyn_sized_stack, 0
	.set _ZL49rocblas_check_numerics_sym_herm_tri_matrix_kernelILi16ELi16EPKdEvbiT1_lllP24rocblas_check_numerics_s.has_recursion, 0
	.set _ZL49rocblas_check_numerics_sym_herm_tri_matrix_kernelILi16ELi16EPKdEvbiT1_lllP24rocblas_check_numerics_s.has_indirect_call, 0
	.section	.AMDGPU.csdata,"",@progbits
; Kernel info:
; codeLenInByte = 792
; TotalNumSgprs: 15
; NumVgprs: 4
; ScratchSize: 0
; MemoryBound: 0
; FloatMode: 240
; IeeeMode: 1
; LDSByteSize: 0 bytes/workgroup (compile time only)
; SGPRBlocks: 0
; VGPRBlocks: 0
; NumSGPRsForWavesPerEU: 15
; NumVGPRsForWavesPerEU: 4
; NamedBarCnt: 0
; Occupancy: 16
; WaveLimiterHint : 0
; COMPUTE_PGM_RSRC2:SCRATCH_EN: 0
; COMPUTE_PGM_RSRC2:USER_SGPR: 2
; COMPUTE_PGM_RSRC2:TRAP_HANDLER: 0
; COMPUTE_PGM_RSRC2:TGID_X_EN: 1
; COMPUTE_PGM_RSRC2:TGID_Y_EN: 1
; COMPUTE_PGM_RSRC2:TGID_Z_EN: 1
; COMPUTE_PGM_RSRC2:TIDIG_COMP_CNT: 1
	.section	.text._ZL39rocblas_check_numerics_ge_matrix_kernelILi16ELi16EPKPdEviiT1_lllP24rocblas_check_numerics_s,"axG",@progbits,_ZL39rocblas_check_numerics_ge_matrix_kernelILi16ELi16EPKPdEviiT1_lllP24rocblas_check_numerics_s,comdat
	.globl	_ZL39rocblas_check_numerics_ge_matrix_kernelILi16ELi16EPKPdEviiT1_lllP24rocblas_check_numerics_s ; -- Begin function _ZL39rocblas_check_numerics_ge_matrix_kernelILi16ELi16EPKPdEviiT1_lllP24rocblas_check_numerics_s
	.p2align	8
	.type	_ZL39rocblas_check_numerics_ge_matrix_kernelILi16ELi16EPKPdEviiT1_lllP24rocblas_check_numerics_s,@function
_ZL39rocblas_check_numerics_ge_matrix_kernelILi16ELi16EPKPdEviiT1_lllP24rocblas_check_numerics_s: ; @_ZL39rocblas_check_numerics_ge_matrix_kernelILi16ELi16EPKPdEviiT1_lllP24rocblas_check_numerics_s
; %bb.0:
	s_clause 0x1
	s_load_b32 s2, s[0:1], 0x3c
	s_load_b64 s[4:5], s[0:1], 0x0
	s_bfe_u32 s7, ttmp6, 0x40010
	s_bfe_u32 s10, ttmp6, 0x4000c
	s_and_b32 s6, ttmp7, 0xffff
	s_add_co_i32 s7, s7, 1
	s_add_co_i32 s10, s10, 1
	s_bfe_u32 s8, ttmp6, 0x40004
	s_and_b32 s9, ttmp6, 15
	s_mul_i32 s7, s6, s7
	s_mul_i32 s10, ttmp9, s10
	s_getreg_b32 s3, hwreg(HW_REG_IB_STS2, 6, 4)
	v_and_b32_e32 v1, 0x3ff, v0
	v_bfe_u32 v2, v0, 10, 10
	s_add_co_i32 s8, s8, s7
	s_add_co_i32 s9, s9, s10
	s_wait_kmcnt 0x0
	s_lshr_b32 s7, s2, 16
	s_and_b32 s2, s2, 0xffff
	s_cmp_eq_u32 s3, 0
	s_cselect_b32 s9, ttmp9, s9
	s_cselect_b32 s6, s6, s8
	v_mad_u32 v0, s9, s2, v1
	v_mad_u32 v2, s6, s7, v2
	s_delay_alu instid0(VALU_DEP_2) | instskip(NEXT) | instid1(VALU_DEP_2)
	v_cmp_gt_i32_e32 vcc_lo, s4, v0
	v_cmp_gt_i32_e64 s2, s5, v2
	s_and_b32 s2, vcc_lo, s2
	s_delay_alu instid0(SALU_CYCLE_1)
	s_and_saveexec_b32 s4, s2
	s_cbranch_execz .LBB12_10
; %bb.1:
	s_clause 0x1
	s_load_b64 s[8:9], s[0:1], 0x18
	s_load_b128 s[4:7], s[0:1], 0x8
	v_dual_ashrrev_i32 v3, 31, v2 :: v_dual_ashrrev_i32 v1, 31, v0
	s_bfe_u32 s2, ttmp6, 0x40014
	s_lshr_b32 s10, ttmp7, 16
	s_add_co_i32 s2, s2, 1
	s_delay_alu instid0(SALU_CYCLE_1) | instskip(SKIP_3) | instid1(SALU_CYCLE_1)
	s_mul_i32 s2, s10, s2
	s_wait_kmcnt 0x0
	v_mul_u64_e32 v[2:3], s[8:9], v[2:3]
	s_bfe_u32 s8, ttmp6, 0x40008
	s_add_co_i32 s8, s8, s2
	s_cmp_eq_u32 s3, 0
	s_cselect_b32 s2, s10, s8
	s_load_b64 s[2:3], s[4:5], s2 offset:0x0 scale_offset
	s_wait_xcnt 0x0
	s_lshl_b64 s[4:5], s[6:7], 3
	s_wait_kmcnt 0x0
	s_add_nc_u64 s[2:3], s[2:3], s[4:5]
	s_delay_alu instid0(VALU_DEP_1) | instid1(SALU_CYCLE_1)
	v_lshl_add_u64 v[2:3], v[2:3], 3, s[2:3]
	s_load_b64 s[2:3], s[0:1], 0x28
	s_delay_alu instid0(VALU_DEP_1)
	v_lshl_add_u64 v[0:1], v[0:1], 3, v[2:3]
	v_mov_b32_e32 v2, 0
	flat_load_b64 v[0:1], v[0:1]
	s_wait_kmcnt 0x0
	global_load_u8 v3, v2, s[2:3] offset:1
	s_wait_loadcnt_dscnt 0x100
	v_cmp_eq_f64_e32 vcc_lo, 0, v[0:1]
	s_wait_loadcnt 0x0
	v_readfirstlane_b32 s0, v3
	s_bitcmp1_b32 s0, 0
	s_cselect_b32 s0, -1, 0
	s_delay_alu instid0(SALU_CYCLE_1) | instskip(NEXT) | instid1(SALU_CYCLE_1)
	s_xor_b32 s0, s0, -1
	s_and_b32 s1, s0, vcc_lo
	s_delay_alu instid0(SALU_CYCLE_1)
	s_and_saveexec_b32 s0, s1
	s_cbranch_execz .LBB12_3
; %bb.2:
	v_mov_b32_e32 v3, 1
	global_store_b8 v2, v3, s[2:3] offset:1
.LBB12_3:
	s_wait_xcnt 0x0
	s_or_b32 exec_lo, exec_lo, s0
	global_load_u8 v2, v2, s[2:3]
	v_cmp_u_f64_e32 vcc_lo, v[0:1], v[0:1]
	s_wait_loadcnt 0x0
	v_readfirstlane_b32 s0, v2
	s_bitcmp1_b32 s0, 0
	s_cselect_b32 s0, -1, 0
	s_delay_alu instid0(SALU_CYCLE_1) | instskip(NEXT) | instid1(SALU_CYCLE_1)
	s_xor_b32 s0, s0, -1
	s_and_b32 s1, s0, vcc_lo
	s_wait_xcnt 0x0
	s_and_saveexec_b32 s0, s1
	s_cbranch_execz .LBB12_5
; %bb.4:
	v_dual_mov_b32 v2, 0 :: v_dual_mov_b32 v3, 1
	global_store_b8 v2, v3, s[2:3]
.LBB12_5:
	s_wait_xcnt 0x0
	s_or_b32 exec_lo, exec_lo, s0
	v_mov_b32_e32 v2, 0
	v_cmp_class_f64_e64 s0, v[0:1], 0x204
	global_load_u8 v3, v2, s[2:3] offset:2
	s_wait_loadcnt 0x0
	v_readfirstlane_b32 s1, v3
	s_bitcmp1_b32 s1, 0
	s_cselect_b32 s1, -1, 0
	s_delay_alu instid0(SALU_CYCLE_1) | instskip(NEXT) | instid1(SALU_CYCLE_1)
	s_xor_b32 s1, s1, -1
	s_and_b32 s1, s1, s0
	s_wait_xcnt 0x0
	s_and_saveexec_b32 s0, s1
	s_cbranch_execz .LBB12_7
; %bb.6:
	v_mov_b32_e32 v3, 1
	global_store_b8 v2, v3, s[2:3] offset:2
.LBB12_7:
	s_wait_xcnt 0x0
	s_or_b32 exec_lo, exec_lo, s0
	global_load_u8 v2, v2, s[2:3] offset:3
	s_wait_loadcnt 0x0
	v_and_b32_e32 v2, 1, v2
	s_delay_alu instid0(VALU_DEP_1)
	v_cmp_eq_u32_e32 vcc_lo, 1, v2
	s_cbranch_vccnz .LBB12_10
; %bb.8:
	v_cmp_gt_f64_e32 vcc_lo, 0, v[0:1]
	v_xor_b32_e32 v2, 0x80000000, v1
	s_delay_alu instid0(VALU_DEP_1) | instskip(NEXT) | instid1(VALU_DEP_1)
	v_cndmask_b32_e32 v1, v1, v2, vcc_lo
	v_cmp_le_f64_e32 vcc_lo, 1, v[0:1]
	v_cmp_gt_f64_e64 s0, 0x100000, v[0:1]
	s_and_b32 s0, vcc_lo, s0
	s_delay_alu instid0(SALU_CYCLE_1)
	s_and_b32 exec_lo, exec_lo, s0
	s_cbranch_execz .LBB12_10
; %bb.9:
	v_dual_mov_b32 v0, 0 :: v_dual_mov_b32 v1, 1
	global_store_b8 v0, v1, s[2:3] offset:3
.LBB12_10:
	s_endpgm
	.section	.rodata,"a",@progbits
	.p2align	6, 0x0
	.amdhsa_kernel _ZL39rocblas_check_numerics_ge_matrix_kernelILi16ELi16EPKPdEviiT1_lllP24rocblas_check_numerics_s
		.amdhsa_group_segment_fixed_size 0
		.amdhsa_private_segment_fixed_size 0
		.amdhsa_kernarg_size 304
		.amdhsa_user_sgpr_count 2
		.amdhsa_user_sgpr_dispatch_ptr 0
		.amdhsa_user_sgpr_queue_ptr 0
		.amdhsa_user_sgpr_kernarg_segment_ptr 1
		.amdhsa_user_sgpr_dispatch_id 0
		.amdhsa_user_sgpr_kernarg_preload_length 0
		.amdhsa_user_sgpr_kernarg_preload_offset 0
		.amdhsa_user_sgpr_private_segment_size 0
		.amdhsa_wavefront_size32 1
		.amdhsa_uses_dynamic_stack 0
		.amdhsa_enable_private_segment 0
		.amdhsa_system_sgpr_workgroup_id_x 1
		.amdhsa_system_sgpr_workgroup_id_y 1
		.amdhsa_system_sgpr_workgroup_id_z 1
		.amdhsa_system_sgpr_workgroup_info 0
		.amdhsa_system_vgpr_workitem_id 1
		.amdhsa_next_free_vgpr 4
		.amdhsa_next_free_sgpr 11
		.amdhsa_named_barrier_count 0
		.amdhsa_reserve_vcc 1
		.amdhsa_float_round_mode_32 0
		.amdhsa_float_round_mode_16_64 0
		.amdhsa_float_denorm_mode_32 3
		.amdhsa_float_denorm_mode_16_64 3
		.amdhsa_fp16_overflow 0
		.amdhsa_memory_ordered 1
		.amdhsa_forward_progress 1
		.amdhsa_inst_pref_size 6
		.amdhsa_round_robin_scheduling 0
		.amdhsa_exception_fp_ieee_invalid_op 0
		.amdhsa_exception_fp_denorm_src 0
		.amdhsa_exception_fp_ieee_div_zero 0
		.amdhsa_exception_fp_ieee_overflow 0
		.amdhsa_exception_fp_ieee_underflow 0
		.amdhsa_exception_fp_ieee_inexact 0
		.amdhsa_exception_int_div_zero 0
	.end_amdhsa_kernel
	.section	.text._ZL39rocblas_check_numerics_ge_matrix_kernelILi16ELi16EPKPdEviiT1_lllP24rocblas_check_numerics_s,"axG",@progbits,_ZL39rocblas_check_numerics_ge_matrix_kernelILi16ELi16EPKPdEviiT1_lllP24rocblas_check_numerics_s,comdat
.Lfunc_end12:
	.size	_ZL39rocblas_check_numerics_ge_matrix_kernelILi16ELi16EPKPdEviiT1_lllP24rocblas_check_numerics_s, .Lfunc_end12-_ZL39rocblas_check_numerics_ge_matrix_kernelILi16ELi16EPKPdEviiT1_lllP24rocblas_check_numerics_s
                                        ; -- End function
	.set _ZL39rocblas_check_numerics_ge_matrix_kernelILi16ELi16EPKPdEviiT1_lllP24rocblas_check_numerics_s.num_vgpr, 4
	.set _ZL39rocblas_check_numerics_ge_matrix_kernelILi16ELi16EPKPdEviiT1_lllP24rocblas_check_numerics_s.num_agpr, 0
	.set _ZL39rocblas_check_numerics_ge_matrix_kernelILi16ELi16EPKPdEviiT1_lllP24rocblas_check_numerics_s.numbered_sgpr, 11
	.set _ZL39rocblas_check_numerics_ge_matrix_kernelILi16ELi16EPKPdEviiT1_lllP24rocblas_check_numerics_s.num_named_barrier, 0
	.set _ZL39rocblas_check_numerics_ge_matrix_kernelILi16ELi16EPKPdEviiT1_lllP24rocblas_check_numerics_s.private_seg_size, 0
	.set _ZL39rocblas_check_numerics_ge_matrix_kernelILi16ELi16EPKPdEviiT1_lllP24rocblas_check_numerics_s.uses_vcc, 1
	.set _ZL39rocblas_check_numerics_ge_matrix_kernelILi16ELi16EPKPdEviiT1_lllP24rocblas_check_numerics_s.uses_flat_scratch, 0
	.set _ZL39rocblas_check_numerics_ge_matrix_kernelILi16ELi16EPKPdEviiT1_lllP24rocblas_check_numerics_s.has_dyn_sized_stack, 0
	.set _ZL39rocblas_check_numerics_ge_matrix_kernelILi16ELi16EPKPdEviiT1_lllP24rocblas_check_numerics_s.has_recursion, 0
	.set _ZL39rocblas_check_numerics_ge_matrix_kernelILi16ELi16EPKPdEviiT1_lllP24rocblas_check_numerics_s.has_indirect_call, 0
	.section	.AMDGPU.csdata,"",@progbits
; Kernel info:
; codeLenInByte = 704
; TotalNumSgprs: 13
; NumVgprs: 4
; ScratchSize: 0
; MemoryBound: 0
; FloatMode: 240
; IeeeMode: 1
; LDSByteSize: 0 bytes/workgroup (compile time only)
; SGPRBlocks: 0
; VGPRBlocks: 0
; NumSGPRsForWavesPerEU: 13
; NumVGPRsForWavesPerEU: 4
; NamedBarCnt: 0
; Occupancy: 16
; WaveLimiterHint : 1
; COMPUTE_PGM_RSRC2:SCRATCH_EN: 0
; COMPUTE_PGM_RSRC2:USER_SGPR: 2
; COMPUTE_PGM_RSRC2:TRAP_HANDLER: 0
; COMPUTE_PGM_RSRC2:TGID_X_EN: 1
; COMPUTE_PGM_RSRC2:TGID_Y_EN: 1
; COMPUTE_PGM_RSRC2:TGID_Z_EN: 1
; COMPUTE_PGM_RSRC2:TIDIG_COMP_CNT: 1
	.section	.text._ZL49rocblas_check_numerics_sym_herm_tri_matrix_kernelILi16ELi16EPKPdEvbiT1_lllP24rocblas_check_numerics_s,"axG",@progbits,_ZL49rocblas_check_numerics_sym_herm_tri_matrix_kernelILi16ELi16EPKPdEvbiT1_lllP24rocblas_check_numerics_s,comdat
	.globl	_ZL49rocblas_check_numerics_sym_herm_tri_matrix_kernelILi16ELi16EPKPdEvbiT1_lllP24rocblas_check_numerics_s ; -- Begin function _ZL49rocblas_check_numerics_sym_herm_tri_matrix_kernelILi16ELi16EPKPdEvbiT1_lllP24rocblas_check_numerics_s
	.p2align	8
	.type	_ZL49rocblas_check_numerics_sym_herm_tri_matrix_kernelILi16ELi16EPKPdEvbiT1_lllP24rocblas_check_numerics_s,@function
_ZL49rocblas_check_numerics_sym_herm_tri_matrix_kernelILi16ELi16EPKPdEvbiT1_lllP24rocblas_check_numerics_s: ; @_ZL49rocblas_check_numerics_sym_herm_tri_matrix_kernelILi16ELi16EPKPdEvbiT1_lllP24rocblas_check_numerics_s
; %bb.0:
	s_clause 0x1
	s_load_b64 s[2:3], s[0:1], 0x0
	s_load_b32 s5, s[0:1], 0x3c
	s_bfe_u32 s7, ttmp6, 0x4000c
	s_bfe_u32 s9, ttmp6, 0x40010
	s_and_b32 s8, ttmp7, 0xffff
	s_add_co_i32 s7, s7, 1
	s_add_co_i32 s9, s9, 1
	s_and_b32 s6, ttmp6, 15
	s_bfe_u32 s10, ttmp6, 0x40004
	s_mul_i32 s7, ttmp9, s7
	s_mul_i32 s9, s8, s9
	s_getreg_b32 s4, hwreg(HW_REG_IB_STS2, 6, 4)
	v_and_b32_e32 v1, 0x3ff, v0
	v_bfe_u32 v2, v0, 10, 10
	s_add_co_i32 s6, s6, s7
	s_add_co_i32 s10, s10, s9
	s_wait_kmcnt 0x0
	s_and_b32 s2, s2, 1
	s_lshr_b32 s7, s5, 16
	s_and_b32 s5, s5, 0xffff
	s_cmp_eq_u32 s4, 0
	s_cselect_b32 s6, ttmp9, s6
	s_cselect_b32 s8, s8, s10
	v_mad_u32 v0, s6, s5, v1
	v_mad_u32 v2, s8, s7, v2
	s_mov_b32 s5, 0
	s_cmp_eq_u32 s2, 0
	s_mov_b32 s2, -1
	s_cbranch_scc1 .LBB13_4
; %bb.1:
	s_and_not1_b32 vcc_lo, exec_lo, s2
	s_cbranch_vccz .LBB13_5
.LBB13_2:
	s_and_saveexec_b32 s2, s5
	s_cbranch_execnz .LBB13_6
.LBB13_3:
	s_endpgm
.LBB13_4:
	s_delay_alu instid0(VALU_DEP_2) | instskip(NEXT) | instid1(VALU_DEP_2)
	v_cmp_gt_i32_e32 vcc_lo, s3, v0
	v_cmp_le_i32_e64 s2, v2, v0
	s_and_b32 s5, vcc_lo, s2
	s_delay_alu instid0(SALU_CYCLE_1)
	s_and_b32 s5, s5, exec_lo
	s_cbranch_execnz .LBB13_2
.LBB13_5:
	s_delay_alu instid0(VALU_DEP_1) | instskip(NEXT) | instid1(VALU_DEP_3)
	v_cmp_gt_i32_e32 vcc_lo, s3, v2
	v_cmp_le_i32_e64 s2, v0, v2
	s_and_not1_b32 s3, s5, exec_lo
	s_and_b32 s2, vcc_lo, s2
	s_delay_alu instid0(SALU_CYCLE_1) | instskip(NEXT) | instid1(SALU_CYCLE_1)
	s_and_b32 s2, s2, exec_lo
	s_or_b32 s5, s3, s2
	s_delay_alu instid0(SALU_CYCLE_1)
	s_and_saveexec_b32 s2, s5
	s_cbranch_execz .LBB13_3
.LBB13_6:
	s_clause 0x1
	s_load_b64 s[2:3], s[0:1], 0x18
	s_load_b128 s[8:11], s[0:1], 0x8
	v_dual_ashrrev_i32 v3, 31, v2 :: v_dual_ashrrev_i32 v1, 31, v0
	s_bfe_u32 s5, ttmp6, 0x40014
	s_lshr_b32 s6, ttmp7, 16
	s_add_co_i32 s5, s5, 1
	s_wait_kmcnt 0x0
	v_mul_u64_e32 v[2:3], s[2:3], v[2:3]
	s_mul_i32 s2, s6, s5
	s_bfe_u32 s3, ttmp6, 0x40008
	s_delay_alu instid0(SALU_CYCLE_1)
	s_add_co_i32 s3, s3, s2
	s_cmp_eq_u32 s4, 0
	s_cselect_b32 s2, s6, s3
	s_lshl_b64 s[4:5], s[10:11], 3
	s_load_b64 s[2:3], s[8:9], s2 offset:0x0 scale_offset
	s_wait_kmcnt 0x0
	s_add_nc_u64 s[2:3], s[2:3], s[4:5]
	s_delay_alu instid0(VALU_DEP_1) | instid1(SALU_CYCLE_1)
	v_lshl_add_u64 v[2:3], v[2:3], 3, s[2:3]
	s_load_b64 s[2:3], s[0:1], 0x28
	s_delay_alu instid0(VALU_DEP_1)
	v_lshl_add_u64 v[0:1], v[0:1], 3, v[2:3]
	v_mov_b32_e32 v2, 0
	flat_load_b64 v[0:1], v[0:1]
	s_wait_kmcnt 0x0
	global_load_u8 v3, v2, s[2:3] offset:1
	s_wait_loadcnt_dscnt 0x100
	v_cmp_eq_f64_e32 vcc_lo, 0, v[0:1]
	s_wait_loadcnt 0x0
	v_readfirstlane_b32 s0, v3
	s_bitcmp1_b32 s0, 0
	s_cselect_b32 s0, -1, 0
	s_delay_alu instid0(SALU_CYCLE_1) | instskip(NEXT) | instid1(SALU_CYCLE_1)
	s_xor_b32 s0, s0, -1
	s_and_b32 s1, s0, vcc_lo
	s_delay_alu instid0(SALU_CYCLE_1)
	s_and_saveexec_b32 s0, s1
	s_cbranch_execz .LBB13_8
; %bb.7:
	v_mov_b32_e32 v3, 1
	global_store_b8 v2, v3, s[2:3] offset:1
.LBB13_8:
	s_wait_xcnt 0x0
	s_or_b32 exec_lo, exec_lo, s0
	global_load_u8 v2, v2, s[2:3]
	v_cmp_u_f64_e32 vcc_lo, v[0:1], v[0:1]
	s_wait_loadcnt 0x0
	v_readfirstlane_b32 s0, v2
	s_bitcmp1_b32 s0, 0
	s_cselect_b32 s0, -1, 0
	s_delay_alu instid0(SALU_CYCLE_1) | instskip(NEXT) | instid1(SALU_CYCLE_1)
	s_xor_b32 s0, s0, -1
	s_and_b32 s1, s0, vcc_lo
	s_wait_xcnt 0x0
	s_and_saveexec_b32 s0, s1
	s_cbranch_execz .LBB13_10
; %bb.9:
	v_dual_mov_b32 v2, 0 :: v_dual_mov_b32 v3, 1
	global_store_b8 v2, v3, s[2:3]
.LBB13_10:
	s_wait_xcnt 0x0
	s_or_b32 exec_lo, exec_lo, s0
	v_mov_b32_e32 v2, 0
	v_cmp_class_f64_e64 s0, v[0:1], 0x204
	global_load_u8 v3, v2, s[2:3] offset:2
	s_wait_loadcnt 0x0
	v_readfirstlane_b32 s1, v3
	s_bitcmp1_b32 s1, 0
	s_cselect_b32 s1, -1, 0
	s_delay_alu instid0(SALU_CYCLE_1) | instskip(NEXT) | instid1(SALU_CYCLE_1)
	s_xor_b32 s1, s1, -1
	s_and_b32 s1, s1, s0
	s_wait_xcnt 0x0
	s_and_saveexec_b32 s0, s1
	s_cbranch_execz .LBB13_12
; %bb.11:
	v_mov_b32_e32 v3, 1
	global_store_b8 v2, v3, s[2:3] offset:2
.LBB13_12:
	s_wait_xcnt 0x0
	s_or_b32 exec_lo, exec_lo, s0
	global_load_u8 v2, v2, s[2:3] offset:3
	s_wait_loadcnt 0x0
	v_and_b32_e32 v2, 1, v2
	s_delay_alu instid0(VALU_DEP_1)
	v_cmp_eq_u32_e32 vcc_lo, 1, v2
	s_cbranch_vccnz .LBB13_3
; %bb.13:
	v_cmp_gt_f64_e32 vcc_lo, 0, v[0:1]
	v_xor_b32_e32 v2, 0x80000000, v1
	s_delay_alu instid0(VALU_DEP_1) | instskip(NEXT) | instid1(VALU_DEP_1)
	v_cndmask_b32_e32 v1, v1, v2, vcc_lo
	v_cmp_le_f64_e32 vcc_lo, 1, v[0:1]
	v_cmp_gt_f64_e64 s0, 0x100000, v[0:1]
	s_and_b32 s0, vcc_lo, s0
	s_delay_alu instid0(SALU_CYCLE_1)
	s_and_b32 exec_lo, exec_lo, s0
	s_cbranch_execz .LBB13_3
; %bb.14:
	v_dual_mov_b32 v0, 0 :: v_dual_mov_b32 v1, 1
	global_store_b8 v0, v1, s[2:3] offset:3
	s_endpgm
	.section	.rodata,"a",@progbits
	.p2align	6, 0x0
	.amdhsa_kernel _ZL49rocblas_check_numerics_sym_herm_tri_matrix_kernelILi16ELi16EPKPdEvbiT1_lllP24rocblas_check_numerics_s
		.amdhsa_group_segment_fixed_size 0
		.amdhsa_private_segment_fixed_size 0
		.amdhsa_kernarg_size 304
		.amdhsa_user_sgpr_count 2
		.amdhsa_user_sgpr_dispatch_ptr 0
		.amdhsa_user_sgpr_queue_ptr 0
		.amdhsa_user_sgpr_kernarg_segment_ptr 1
		.amdhsa_user_sgpr_dispatch_id 0
		.amdhsa_user_sgpr_kernarg_preload_length 0
		.amdhsa_user_sgpr_kernarg_preload_offset 0
		.amdhsa_user_sgpr_private_segment_size 0
		.amdhsa_wavefront_size32 1
		.amdhsa_uses_dynamic_stack 0
		.amdhsa_enable_private_segment 0
		.amdhsa_system_sgpr_workgroup_id_x 1
		.amdhsa_system_sgpr_workgroup_id_y 1
		.amdhsa_system_sgpr_workgroup_id_z 1
		.amdhsa_system_sgpr_workgroup_info 0
		.amdhsa_system_vgpr_workitem_id 1
		.amdhsa_next_free_vgpr 4
		.amdhsa_next_free_sgpr 12
		.amdhsa_named_barrier_count 0
		.amdhsa_reserve_vcc 1
		.amdhsa_float_round_mode_32 0
		.amdhsa_float_round_mode_16_64 0
		.amdhsa_float_denorm_mode_32 3
		.amdhsa_float_denorm_mode_16_64 3
		.amdhsa_fp16_overflow 0
		.amdhsa_memory_ordered 1
		.amdhsa_forward_progress 1
		.amdhsa_inst_pref_size 7
		.amdhsa_round_robin_scheduling 0
		.amdhsa_exception_fp_ieee_invalid_op 0
		.amdhsa_exception_fp_denorm_src 0
		.amdhsa_exception_fp_ieee_div_zero 0
		.amdhsa_exception_fp_ieee_overflow 0
		.amdhsa_exception_fp_ieee_underflow 0
		.amdhsa_exception_fp_ieee_inexact 0
		.amdhsa_exception_int_div_zero 0
	.end_amdhsa_kernel
	.section	.text._ZL49rocblas_check_numerics_sym_herm_tri_matrix_kernelILi16ELi16EPKPdEvbiT1_lllP24rocblas_check_numerics_s,"axG",@progbits,_ZL49rocblas_check_numerics_sym_herm_tri_matrix_kernelILi16ELi16EPKPdEvbiT1_lllP24rocblas_check_numerics_s,comdat
.Lfunc_end13:
	.size	_ZL49rocblas_check_numerics_sym_herm_tri_matrix_kernelILi16ELi16EPKPdEvbiT1_lllP24rocblas_check_numerics_s, .Lfunc_end13-_ZL49rocblas_check_numerics_sym_herm_tri_matrix_kernelILi16ELi16EPKPdEvbiT1_lllP24rocblas_check_numerics_s
                                        ; -- End function
	.set _ZL49rocblas_check_numerics_sym_herm_tri_matrix_kernelILi16ELi16EPKPdEvbiT1_lllP24rocblas_check_numerics_s.num_vgpr, 4
	.set _ZL49rocblas_check_numerics_sym_herm_tri_matrix_kernelILi16ELi16EPKPdEvbiT1_lllP24rocblas_check_numerics_s.num_agpr, 0
	.set _ZL49rocblas_check_numerics_sym_herm_tri_matrix_kernelILi16ELi16EPKPdEvbiT1_lllP24rocblas_check_numerics_s.numbered_sgpr, 12
	.set _ZL49rocblas_check_numerics_sym_herm_tri_matrix_kernelILi16ELi16EPKPdEvbiT1_lllP24rocblas_check_numerics_s.num_named_barrier, 0
	.set _ZL49rocblas_check_numerics_sym_herm_tri_matrix_kernelILi16ELi16EPKPdEvbiT1_lllP24rocblas_check_numerics_s.private_seg_size, 0
	.set _ZL49rocblas_check_numerics_sym_herm_tri_matrix_kernelILi16ELi16EPKPdEvbiT1_lllP24rocblas_check_numerics_s.uses_vcc, 1
	.set _ZL49rocblas_check_numerics_sym_herm_tri_matrix_kernelILi16ELi16EPKPdEvbiT1_lllP24rocblas_check_numerics_s.uses_flat_scratch, 0
	.set _ZL49rocblas_check_numerics_sym_herm_tri_matrix_kernelILi16ELi16EPKPdEvbiT1_lllP24rocblas_check_numerics_s.has_dyn_sized_stack, 0
	.set _ZL49rocblas_check_numerics_sym_herm_tri_matrix_kernelILi16ELi16EPKPdEvbiT1_lllP24rocblas_check_numerics_s.has_recursion, 0
	.set _ZL49rocblas_check_numerics_sym_herm_tri_matrix_kernelILi16ELi16EPKPdEvbiT1_lllP24rocblas_check_numerics_s.has_indirect_call, 0
	.section	.AMDGPU.csdata,"",@progbits
; Kernel info:
; codeLenInByte = 788
; TotalNumSgprs: 14
; NumVgprs: 4
; ScratchSize: 0
; MemoryBound: 0
; FloatMode: 240
; IeeeMode: 1
; LDSByteSize: 0 bytes/workgroup (compile time only)
; SGPRBlocks: 0
; VGPRBlocks: 0
; NumSGPRsForWavesPerEU: 14
; NumVGPRsForWavesPerEU: 4
; NamedBarCnt: 0
; Occupancy: 16
; WaveLimiterHint : 1
; COMPUTE_PGM_RSRC2:SCRATCH_EN: 0
; COMPUTE_PGM_RSRC2:USER_SGPR: 2
; COMPUTE_PGM_RSRC2:TRAP_HANDLER: 0
; COMPUTE_PGM_RSRC2:TGID_X_EN: 1
; COMPUTE_PGM_RSRC2:TGID_Y_EN: 1
; COMPUTE_PGM_RSRC2:TGID_Z_EN: 1
; COMPUTE_PGM_RSRC2:TIDIG_COMP_CNT: 1
	.section	.text._ZL39rocblas_check_numerics_ge_matrix_kernelILi16ELi16EPKPKdEviiT1_lllP24rocblas_check_numerics_s,"axG",@progbits,_ZL39rocblas_check_numerics_ge_matrix_kernelILi16ELi16EPKPKdEviiT1_lllP24rocblas_check_numerics_s,comdat
	.globl	_ZL39rocblas_check_numerics_ge_matrix_kernelILi16ELi16EPKPKdEviiT1_lllP24rocblas_check_numerics_s ; -- Begin function _ZL39rocblas_check_numerics_ge_matrix_kernelILi16ELi16EPKPKdEviiT1_lllP24rocblas_check_numerics_s
	.p2align	8
	.type	_ZL39rocblas_check_numerics_ge_matrix_kernelILi16ELi16EPKPKdEviiT1_lllP24rocblas_check_numerics_s,@function
_ZL39rocblas_check_numerics_ge_matrix_kernelILi16ELi16EPKPKdEviiT1_lllP24rocblas_check_numerics_s: ; @_ZL39rocblas_check_numerics_ge_matrix_kernelILi16ELi16EPKPKdEviiT1_lllP24rocblas_check_numerics_s
; %bb.0:
	s_clause 0x1
	s_load_b32 s2, s[0:1], 0x3c
	s_load_b64 s[4:5], s[0:1], 0x0
	s_bfe_u32 s7, ttmp6, 0x40010
	s_bfe_u32 s10, ttmp6, 0x4000c
	s_and_b32 s6, ttmp7, 0xffff
	s_add_co_i32 s7, s7, 1
	s_add_co_i32 s10, s10, 1
	s_bfe_u32 s8, ttmp6, 0x40004
	s_and_b32 s9, ttmp6, 15
	s_mul_i32 s7, s6, s7
	s_mul_i32 s10, ttmp9, s10
	s_getreg_b32 s3, hwreg(HW_REG_IB_STS2, 6, 4)
	v_and_b32_e32 v1, 0x3ff, v0
	v_bfe_u32 v2, v0, 10, 10
	s_add_co_i32 s8, s8, s7
	s_add_co_i32 s9, s9, s10
	s_wait_kmcnt 0x0
	s_lshr_b32 s7, s2, 16
	s_and_b32 s2, s2, 0xffff
	s_cmp_eq_u32 s3, 0
	s_cselect_b32 s9, ttmp9, s9
	s_cselect_b32 s6, s6, s8
	v_mad_u32 v0, s9, s2, v1
	v_mad_u32 v2, s6, s7, v2
	s_delay_alu instid0(VALU_DEP_2) | instskip(NEXT) | instid1(VALU_DEP_2)
	v_cmp_gt_i32_e32 vcc_lo, s4, v0
	v_cmp_gt_i32_e64 s2, s5, v2
	s_and_b32 s2, vcc_lo, s2
	s_delay_alu instid0(SALU_CYCLE_1)
	s_and_saveexec_b32 s4, s2
	s_cbranch_execz .LBB14_10
; %bb.1:
	s_clause 0x1
	s_load_b64 s[8:9], s[0:1], 0x18
	s_load_b128 s[4:7], s[0:1], 0x8
	v_dual_ashrrev_i32 v3, 31, v2 :: v_dual_ashrrev_i32 v1, 31, v0
	s_bfe_u32 s2, ttmp6, 0x40014
	s_lshr_b32 s10, ttmp7, 16
	s_add_co_i32 s2, s2, 1
	s_delay_alu instid0(SALU_CYCLE_1) | instskip(SKIP_3) | instid1(SALU_CYCLE_1)
	s_mul_i32 s2, s10, s2
	s_wait_kmcnt 0x0
	v_mul_u64_e32 v[2:3], s[8:9], v[2:3]
	s_bfe_u32 s8, ttmp6, 0x40008
	s_add_co_i32 s8, s8, s2
	s_cmp_eq_u32 s3, 0
	s_cselect_b32 s2, s10, s8
	s_load_b64 s[2:3], s[4:5], s2 offset:0x0 scale_offset
	s_wait_xcnt 0x0
	s_lshl_b64 s[4:5], s[6:7], 3
	s_wait_kmcnt 0x0
	s_add_nc_u64 s[2:3], s[2:3], s[4:5]
	s_delay_alu instid0(VALU_DEP_1) | instid1(SALU_CYCLE_1)
	v_lshl_add_u64 v[2:3], v[2:3], 3, s[2:3]
	s_load_b64 s[2:3], s[0:1], 0x28
	s_delay_alu instid0(VALU_DEP_1)
	v_lshl_add_u64 v[0:1], v[0:1], 3, v[2:3]
	v_mov_b32_e32 v2, 0
	flat_load_b64 v[0:1], v[0:1]
	s_wait_kmcnt 0x0
	global_load_u8 v3, v2, s[2:3] offset:1
	s_wait_loadcnt_dscnt 0x100
	v_cmp_eq_f64_e32 vcc_lo, 0, v[0:1]
	s_wait_loadcnt 0x0
	v_readfirstlane_b32 s0, v3
	s_bitcmp1_b32 s0, 0
	s_cselect_b32 s0, -1, 0
	s_delay_alu instid0(SALU_CYCLE_1) | instskip(NEXT) | instid1(SALU_CYCLE_1)
	s_xor_b32 s0, s0, -1
	s_and_b32 s1, s0, vcc_lo
	s_delay_alu instid0(SALU_CYCLE_1)
	s_and_saveexec_b32 s0, s1
	s_cbranch_execz .LBB14_3
; %bb.2:
	v_mov_b32_e32 v3, 1
	global_store_b8 v2, v3, s[2:3] offset:1
.LBB14_3:
	s_wait_xcnt 0x0
	s_or_b32 exec_lo, exec_lo, s0
	global_load_u8 v2, v2, s[2:3]
	v_cmp_u_f64_e32 vcc_lo, v[0:1], v[0:1]
	s_wait_loadcnt 0x0
	v_readfirstlane_b32 s0, v2
	s_bitcmp1_b32 s0, 0
	s_cselect_b32 s0, -1, 0
	s_delay_alu instid0(SALU_CYCLE_1) | instskip(NEXT) | instid1(SALU_CYCLE_1)
	s_xor_b32 s0, s0, -1
	s_and_b32 s1, s0, vcc_lo
	s_wait_xcnt 0x0
	s_and_saveexec_b32 s0, s1
	s_cbranch_execz .LBB14_5
; %bb.4:
	v_dual_mov_b32 v2, 0 :: v_dual_mov_b32 v3, 1
	global_store_b8 v2, v3, s[2:3]
.LBB14_5:
	s_wait_xcnt 0x0
	s_or_b32 exec_lo, exec_lo, s0
	v_mov_b32_e32 v2, 0
	v_cmp_class_f64_e64 s0, v[0:1], 0x204
	global_load_u8 v3, v2, s[2:3] offset:2
	s_wait_loadcnt 0x0
	v_readfirstlane_b32 s1, v3
	s_bitcmp1_b32 s1, 0
	s_cselect_b32 s1, -1, 0
	s_delay_alu instid0(SALU_CYCLE_1) | instskip(NEXT) | instid1(SALU_CYCLE_1)
	s_xor_b32 s1, s1, -1
	s_and_b32 s1, s1, s0
	s_wait_xcnt 0x0
	s_and_saveexec_b32 s0, s1
	s_cbranch_execz .LBB14_7
; %bb.6:
	v_mov_b32_e32 v3, 1
	global_store_b8 v2, v3, s[2:3] offset:2
.LBB14_7:
	s_wait_xcnt 0x0
	s_or_b32 exec_lo, exec_lo, s0
	global_load_u8 v2, v2, s[2:3] offset:3
	s_wait_loadcnt 0x0
	v_and_b32_e32 v2, 1, v2
	s_delay_alu instid0(VALU_DEP_1)
	v_cmp_eq_u32_e32 vcc_lo, 1, v2
	s_cbranch_vccnz .LBB14_10
; %bb.8:
	v_cmp_gt_f64_e32 vcc_lo, 0, v[0:1]
	v_xor_b32_e32 v2, 0x80000000, v1
	s_delay_alu instid0(VALU_DEP_1) | instskip(NEXT) | instid1(VALU_DEP_1)
	v_cndmask_b32_e32 v1, v1, v2, vcc_lo
	v_cmp_le_f64_e32 vcc_lo, 1, v[0:1]
	v_cmp_gt_f64_e64 s0, 0x100000, v[0:1]
	s_and_b32 s0, vcc_lo, s0
	s_delay_alu instid0(SALU_CYCLE_1)
	s_and_b32 exec_lo, exec_lo, s0
	s_cbranch_execz .LBB14_10
; %bb.9:
	v_dual_mov_b32 v0, 0 :: v_dual_mov_b32 v1, 1
	global_store_b8 v0, v1, s[2:3] offset:3
.LBB14_10:
	s_endpgm
	.section	.rodata,"a",@progbits
	.p2align	6, 0x0
	.amdhsa_kernel _ZL39rocblas_check_numerics_ge_matrix_kernelILi16ELi16EPKPKdEviiT1_lllP24rocblas_check_numerics_s
		.amdhsa_group_segment_fixed_size 0
		.amdhsa_private_segment_fixed_size 0
		.amdhsa_kernarg_size 304
		.amdhsa_user_sgpr_count 2
		.amdhsa_user_sgpr_dispatch_ptr 0
		.amdhsa_user_sgpr_queue_ptr 0
		.amdhsa_user_sgpr_kernarg_segment_ptr 1
		.amdhsa_user_sgpr_dispatch_id 0
		.amdhsa_user_sgpr_kernarg_preload_length 0
		.amdhsa_user_sgpr_kernarg_preload_offset 0
		.amdhsa_user_sgpr_private_segment_size 0
		.amdhsa_wavefront_size32 1
		.amdhsa_uses_dynamic_stack 0
		.amdhsa_enable_private_segment 0
		.amdhsa_system_sgpr_workgroup_id_x 1
		.amdhsa_system_sgpr_workgroup_id_y 1
		.amdhsa_system_sgpr_workgroup_id_z 1
		.amdhsa_system_sgpr_workgroup_info 0
		.amdhsa_system_vgpr_workitem_id 1
		.amdhsa_next_free_vgpr 4
		.amdhsa_next_free_sgpr 11
		.amdhsa_named_barrier_count 0
		.amdhsa_reserve_vcc 1
		.amdhsa_float_round_mode_32 0
		.amdhsa_float_round_mode_16_64 0
		.amdhsa_float_denorm_mode_32 3
		.amdhsa_float_denorm_mode_16_64 3
		.amdhsa_fp16_overflow 0
		.amdhsa_memory_ordered 1
		.amdhsa_forward_progress 1
		.amdhsa_inst_pref_size 6
		.amdhsa_round_robin_scheduling 0
		.amdhsa_exception_fp_ieee_invalid_op 0
		.amdhsa_exception_fp_denorm_src 0
		.amdhsa_exception_fp_ieee_div_zero 0
		.amdhsa_exception_fp_ieee_overflow 0
		.amdhsa_exception_fp_ieee_underflow 0
		.amdhsa_exception_fp_ieee_inexact 0
		.amdhsa_exception_int_div_zero 0
	.end_amdhsa_kernel
	.section	.text._ZL39rocblas_check_numerics_ge_matrix_kernelILi16ELi16EPKPKdEviiT1_lllP24rocblas_check_numerics_s,"axG",@progbits,_ZL39rocblas_check_numerics_ge_matrix_kernelILi16ELi16EPKPKdEviiT1_lllP24rocblas_check_numerics_s,comdat
.Lfunc_end14:
	.size	_ZL39rocblas_check_numerics_ge_matrix_kernelILi16ELi16EPKPKdEviiT1_lllP24rocblas_check_numerics_s, .Lfunc_end14-_ZL39rocblas_check_numerics_ge_matrix_kernelILi16ELi16EPKPKdEviiT1_lllP24rocblas_check_numerics_s
                                        ; -- End function
	.set _ZL39rocblas_check_numerics_ge_matrix_kernelILi16ELi16EPKPKdEviiT1_lllP24rocblas_check_numerics_s.num_vgpr, 4
	.set _ZL39rocblas_check_numerics_ge_matrix_kernelILi16ELi16EPKPKdEviiT1_lllP24rocblas_check_numerics_s.num_agpr, 0
	.set _ZL39rocblas_check_numerics_ge_matrix_kernelILi16ELi16EPKPKdEviiT1_lllP24rocblas_check_numerics_s.numbered_sgpr, 11
	.set _ZL39rocblas_check_numerics_ge_matrix_kernelILi16ELi16EPKPKdEviiT1_lllP24rocblas_check_numerics_s.num_named_barrier, 0
	.set _ZL39rocblas_check_numerics_ge_matrix_kernelILi16ELi16EPKPKdEviiT1_lllP24rocblas_check_numerics_s.private_seg_size, 0
	.set _ZL39rocblas_check_numerics_ge_matrix_kernelILi16ELi16EPKPKdEviiT1_lllP24rocblas_check_numerics_s.uses_vcc, 1
	.set _ZL39rocblas_check_numerics_ge_matrix_kernelILi16ELi16EPKPKdEviiT1_lllP24rocblas_check_numerics_s.uses_flat_scratch, 0
	.set _ZL39rocblas_check_numerics_ge_matrix_kernelILi16ELi16EPKPKdEviiT1_lllP24rocblas_check_numerics_s.has_dyn_sized_stack, 0
	.set _ZL39rocblas_check_numerics_ge_matrix_kernelILi16ELi16EPKPKdEviiT1_lllP24rocblas_check_numerics_s.has_recursion, 0
	.set _ZL39rocblas_check_numerics_ge_matrix_kernelILi16ELi16EPKPKdEviiT1_lllP24rocblas_check_numerics_s.has_indirect_call, 0
	.section	.AMDGPU.csdata,"",@progbits
; Kernel info:
; codeLenInByte = 704
; TotalNumSgprs: 13
; NumVgprs: 4
; ScratchSize: 0
; MemoryBound: 0
; FloatMode: 240
; IeeeMode: 1
; LDSByteSize: 0 bytes/workgroup (compile time only)
; SGPRBlocks: 0
; VGPRBlocks: 0
; NumSGPRsForWavesPerEU: 13
; NumVGPRsForWavesPerEU: 4
; NamedBarCnt: 0
; Occupancy: 16
; WaveLimiterHint : 1
; COMPUTE_PGM_RSRC2:SCRATCH_EN: 0
; COMPUTE_PGM_RSRC2:USER_SGPR: 2
; COMPUTE_PGM_RSRC2:TRAP_HANDLER: 0
; COMPUTE_PGM_RSRC2:TGID_X_EN: 1
; COMPUTE_PGM_RSRC2:TGID_Y_EN: 1
; COMPUTE_PGM_RSRC2:TGID_Z_EN: 1
; COMPUTE_PGM_RSRC2:TIDIG_COMP_CNT: 1
	.section	.text._ZL49rocblas_check_numerics_sym_herm_tri_matrix_kernelILi16ELi16EPKPKdEvbiT1_lllP24rocblas_check_numerics_s,"axG",@progbits,_ZL49rocblas_check_numerics_sym_herm_tri_matrix_kernelILi16ELi16EPKPKdEvbiT1_lllP24rocblas_check_numerics_s,comdat
	.globl	_ZL49rocblas_check_numerics_sym_herm_tri_matrix_kernelILi16ELi16EPKPKdEvbiT1_lllP24rocblas_check_numerics_s ; -- Begin function _ZL49rocblas_check_numerics_sym_herm_tri_matrix_kernelILi16ELi16EPKPKdEvbiT1_lllP24rocblas_check_numerics_s
	.p2align	8
	.type	_ZL49rocblas_check_numerics_sym_herm_tri_matrix_kernelILi16ELi16EPKPKdEvbiT1_lllP24rocblas_check_numerics_s,@function
_ZL49rocblas_check_numerics_sym_herm_tri_matrix_kernelILi16ELi16EPKPKdEvbiT1_lllP24rocblas_check_numerics_s: ; @_ZL49rocblas_check_numerics_sym_herm_tri_matrix_kernelILi16ELi16EPKPKdEvbiT1_lllP24rocblas_check_numerics_s
; %bb.0:
	s_clause 0x1
	s_load_b64 s[2:3], s[0:1], 0x0
	s_load_b32 s5, s[0:1], 0x3c
	s_bfe_u32 s7, ttmp6, 0x4000c
	s_bfe_u32 s9, ttmp6, 0x40010
	s_and_b32 s8, ttmp7, 0xffff
	s_add_co_i32 s7, s7, 1
	s_add_co_i32 s9, s9, 1
	s_and_b32 s6, ttmp6, 15
	s_bfe_u32 s10, ttmp6, 0x40004
	s_mul_i32 s7, ttmp9, s7
	s_mul_i32 s9, s8, s9
	s_getreg_b32 s4, hwreg(HW_REG_IB_STS2, 6, 4)
	v_and_b32_e32 v1, 0x3ff, v0
	v_bfe_u32 v2, v0, 10, 10
	s_add_co_i32 s6, s6, s7
	s_add_co_i32 s10, s10, s9
	s_wait_kmcnt 0x0
	s_and_b32 s2, s2, 1
	s_lshr_b32 s7, s5, 16
	s_and_b32 s5, s5, 0xffff
	s_cmp_eq_u32 s4, 0
	s_cselect_b32 s6, ttmp9, s6
	s_cselect_b32 s8, s8, s10
	v_mad_u32 v0, s6, s5, v1
	v_mad_u32 v2, s8, s7, v2
	s_mov_b32 s5, 0
	s_cmp_eq_u32 s2, 0
	s_mov_b32 s2, -1
	s_cbranch_scc1 .LBB15_4
; %bb.1:
	s_and_not1_b32 vcc_lo, exec_lo, s2
	s_cbranch_vccz .LBB15_5
.LBB15_2:
	s_and_saveexec_b32 s2, s5
	s_cbranch_execnz .LBB15_6
.LBB15_3:
	s_endpgm
.LBB15_4:
	s_delay_alu instid0(VALU_DEP_2) | instskip(NEXT) | instid1(VALU_DEP_2)
	v_cmp_gt_i32_e32 vcc_lo, s3, v0
	v_cmp_le_i32_e64 s2, v2, v0
	s_and_b32 s5, vcc_lo, s2
	s_delay_alu instid0(SALU_CYCLE_1)
	s_and_b32 s5, s5, exec_lo
	s_cbranch_execnz .LBB15_2
.LBB15_5:
	s_delay_alu instid0(VALU_DEP_1) | instskip(NEXT) | instid1(VALU_DEP_3)
	v_cmp_gt_i32_e32 vcc_lo, s3, v2
	v_cmp_le_i32_e64 s2, v0, v2
	s_and_not1_b32 s3, s5, exec_lo
	s_and_b32 s2, vcc_lo, s2
	s_delay_alu instid0(SALU_CYCLE_1) | instskip(NEXT) | instid1(SALU_CYCLE_1)
	s_and_b32 s2, s2, exec_lo
	s_or_b32 s5, s3, s2
	s_delay_alu instid0(SALU_CYCLE_1)
	s_and_saveexec_b32 s2, s5
	s_cbranch_execz .LBB15_3
.LBB15_6:
	s_clause 0x1
	s_load_b64 s[2:3], s[0:1], 0x18
	s_load_b128 s[8:11], s[0:1], 0x8
	v_dual_ashrrev_i32 v3, 31, v2 :: v_dual_ashrrev_i32 v1, 31, v0
	s_bfe_u32 s5, ttmp6, 0x40014
	s_lshr_b32 s6, ttmp7, 16
	s_add_co_i32 s5, s5, 1
	s_wait_kmcnt 0x0
	v_mul_u64_e32 v[2:3], s[2:3], v[2:3]
	s_mul_i32 s2, s6, s5
	s_bfe_u32 s3, ttmp6, 0x40008
	s_delay_alu instid0(SALU_CYCLE_1)
	s_add_co_i32 s3, s3, s2
	s_cmp_eq_u32 s4, 0
	s_cselect_b32 s2, s6, s3
	s_lshl_b64 s[4:5], s[10:11], 3
	s_load_b64 s[2:3], s[8:9], s2 offset:0x0 scale_offset
	s_wait_kmcnt 0x0
	s_add_nc_u64 s[2:3], s[2:3], s[4:5]
	s_delay_alu instid0(VALU_DEP_1) | instid1(SALU_CYCLE_1)
	v_lshl_add_u64 v[2:3], v[2:3], 3, s[2:3]
	s_load_b64 s[2:3], s[0:1], 0x28
	s_delay_alu instid0(VALU_DEP_1)
	v_lshl_add_u64 v[0:1], v[0:1], 3, v[2:3]
	v_mov_b32_e32 v2, 0
	flat_load_b64 v[0:1], v[0:1]
	s_wait_kmcnt 0x0
	global_load_u8 v3, v2, s[2:3] offset:1
	s_wait_loadcnt_dscnt 0x100
	v_cmp_eq_f64_e32 vcc_lo, 0, v[0:1]
	s_wait_loadcnt 0x0
	v_readfirstlane_b32 s0, v3
	s_bitcmp1_b32 s0, 0
	s_cselect_b32 s0, -1, 0
	s_delay_alu instid0(SALU_CYCLE_1) | instskip(NEXT) | instid1(SALU_CYCLE_1)
	s_xor_b32 s0, s0, -1
	s_and_b32 s1, s0, vcc_lo
	s_delay_alu instid0(SALU_CYCLE_1)
	s_and_saveexec_b32 s0, s1
	s_cbranch_execz .LBB15_8
; %bb.7:
	v_mov_b32_e32 v3, 1
	global_store_b8 v2, v3, s[2:3] offset:1
.LBB15_8:
	s_wait_xcnt 0x0
	s_or_b32 exec_lo, exec_lo, s0
	global_load_u8 v2, v2, s[2:3]
	v_cmp_u_f64_e32 vcc_lo, v[0:1], v[0:1]
	s_wait_loadcnt 0x0
	v_readfirstlane_b32 s0, v2
	s_bitcmp1_b32 s0, 0
	s_cselect_b32 s0, -1, 0
	s_delay_alu instid0(SALU_CYCLE_1) | instskip(NEXT) | instid1(SALU_CYCLE_1)
	s_xor_b32 s0, s0, -1
	s_and_b32 s1, s0, vcc_lo
	s_wait_xcnt 0x0
	s_and_saveexec_b32 s0, s1
	s_cbranch_execz .LBB15_10
; %bb.9:
	v_dual_mov_b32 v2, 0 :: v_dual_mov_b32 v3, 1
	global_store_b8 v2, v3, s[2:3]
.LBB15_10:
	s_wait_xcnt 0x0
	s_or_b32 exec_lo, exec_lo, s0
	v_mov_b32_e32 v2, 0
	v_cmp_class_f64_e64 s0, v[0:1], 0x204
	global_load_u8 v3, v2, s[2:3] offset:2
	s_wait_loadcnt 0x0
	v_readfirstlane_b32 s1, v3
	s_bitcmp1_b32 s1, 0
	s_cselect_b32 s1, -1, 0
	s_delay_alu instid0(SALU_CYCLE_1) | instskip(NEXT) | instid1(SALU_CYCLE_1)
	s_xor_b32 s1, s1, -1
	s_and_b32 s1, s1, s0
	s_wait_xcnt 0x0
	s_and_saveexec_b32 s0, s1
	s_cbranch_execz .LBB15_12
; %bb.11:
	v_mov_b32_e32 v3, 1
	global_store_b8 v2, v3, s[2:3] offset:2
.LBB15_12:
	s_wait_xcnt 0x0
	s_or_b32 exec_lo, exec_lo, s0
	global_load_u8 v2, v2, s[2:3] offset:3
	s_wait_loadcnt 0x0
	v_and_b32_e32 v2, 1, v2
	s_delay_alu instid0(VALU_DEP_1)
	v_cmp_eq_u32_e32 vcc_lo, 1, v2
	s_cbranch_vccnz .LBB15_3
; %bb.13:
	v_cmp_gt_f64_e32 vcc_lo, 0, v[0:1]
	v_xor_b32_e32 v2, 0x80000000, v1
	s_delay_alu instid0(VALU_DEP_1) | instskip(NEXT) | instid1(VALU_DEP_1)
	v_cndmask_b32_e32 v1, v1, v2, vcc_lo
	v_cmp_le_f64_e32 vcc_lo, 1, v[0:1]
	v_cmp_gt_f64_e64 s0, 0x100000, v[0:1]
	s_and_b32 s0, vcc_lo, s0
	s_delay_alu instid0(SALU_CYCLE_1)
	s_and_b32 exec_lo, exec_lo, s0
	s_cbranch_execz .LBB15_3
; %bb.14:
	v_dual_mov_b32 v0, 0 :: v_dual_mov_b32 v1, 1
	global_store_b8 v0, v1, s[2:3] offset:3
	s_endpgm
	.section	.rodata,"a",@progbits
	.p2align	6, 0x0
	.amdhsa_kernel _ZL49rocblas_check_numerics_sym_herm_tri_matrix_kernelILi16ELi16EPKPKdEvbiT1_lllP24rocblas_check_numerics_s
		.amdhsa_group_segment_fixed_size 0
		.amdhsa_private_segment_fixed_size 0
		.amdhsa_kernarg_size 304
		.amdhsa_user_sgpr_count 2
		.amdhsa_user_sgpr_dispatch_ptr 0
		.amdhsa_user_sgpr_queue_ptr 0
		.amdhsa_user_sgpr_kernarg_segment_ptr 1
		.amdhsa_user_sgpr_dispatch_id 0
		.amdhsa_user_sgpr_kernarg_preload_length 0
		.amdhsa_user_sgpr_kernarg_preload_offset 0
		.amdhsa_user_sgpr_private_segment_size 0
		.amdhsa_wavefront_size32 1
		.amdhsa_uses_dynamic_stack 0
		.amdhsa_enable_private_segment 0
		.amdhsa_system_sgpr_workgroup_id_x 1
		.amdhsa_system_sgpr_workgroup_id_y 1
		.amdhsa_system_sgpr_workgroup_id_z 1
		.amdhsa_system_sgpr_workgroup_info 0
		.amdhsa_system_vgpr_workitem_id 1
		.amdhsa_next_free_vgpr 4
		.amdhsa_next_free_sgpr 12
		.amdhsa_named_barrier_count 0
		.amdhsa_reserve_vcc 1
		.amdhsa_float_round_mode_32 0
		.amdhsa_float_round_mode_16_64 0
		.amdhsa_float_denorm_mode_32 3
		.amdhsa_float_denorm_mode_16_64 3
		.amdhsa_fp16_overflow 0
		.amdhsa_memory_ordered 1
		.amdhsa_forward_progress 1
		.amdhsa_inst_pref_size 7
		.amdhsa_round_robin_scheduling 0
		.amdhsa_exception_fp_ieee_invalid_op 0
		.amdhsa_exception_fp_denorm_src 0
		.amdhsa_exception_fp_ieee_div_zero 0
		.amdhsa_exception_fp_ieee_overflow 0
		.amdhsa_exception_fp_ieee_underflow 0
		.amdhsa_exception_fp_ieee_inexact 0
		.amdhsa_exception_int_div_zero 0
	.end_amdhsa_kernel
	.section	.text._ZL49rocblas_check_numerics_sym_herm_tri_matrix_kernelILi16ELi16EPKPKdEvbiT1_lllP24rocblas_check_numerics_s,"axG",@progbits,_ZL49rocblas_check_numerics_sym_herm_tri_matrix_kernelILi16ELi16EPKPKdEvbiT1_lllP24rocblas_check_numerics_s,comdat
.Lfunc_end15:
	.size	_ZL49rocblas_check_numerics_sym_herm_tri_matrix_kernelILi16ELi16EPKPKdEvbiT1_lllP24rocblas_check_numerics_s, .Lfunc_end15-_ZL49rocblas_check_numerics_sym_herm_tri_matrix_kernelILi16ELi16EPKPKdEvbiT1_lllP24rocblas_check_numerics_s
                                        ; -- End function
	.set _ZL49rocblas_check_numerics_sym_herm_tri_matrix_kernelILi16ELi16EPKPKdEvbiT1_lllP24rocblas_check_numerics_s.num_vgpr, 4
	.set _ZL49rocblas_check_numerics_sym_herm_tri_matrix_kernelILi16ELi16EPKPKdEvbiT1_lllP24rocblas_check_numerics_s.num_agpr, 0
	.set _ZL49rocblas_check_numerics_sym_herm_tri_matrix_kernelILi16ELi16EPKPKdEvbiT1_lllP24rocblas_check_numerics_s.numbered_sgpr, 12
	.set _ZL49rocblas_check_numerics_sym_herm_tri_matrix_kernelILi16ELi16EPKPKdEvbiT1_lllP24rocblas_check_numerics_s.num_named_barrier, 0
	.set _ZL49rocblas_check_numerics_sym_herm_tri_matrix_kernelILi16ELi16EPKPKdEvbiT1_lllP24rocblas_check_numerics_s.private_seg_size, 0
	.set _ZL49rocblas_check_numerics_sym_herm_tri_matrix_kernelILi16ELi16EPKPKdEvbiT1_lllP24rocblas_check_numerics_s.uses_vcc, 1
	.set _ZL49rocblas_check_numerics_sym_herm_tri_matrix_kernelILi16ELi16EPKPKdEvbiT1_lllP24rocblas_check_numerics_s.uses_flat_scratch, 0
	.set _ZL49rocblas_check_numerics_sym_herm_tri_matrix_kernelILi16ELi16EPKPKdEvbiT1_lllP24rocblas_check_numerics_s.has_dyn_sized_stack, 0
	.set _ZL49rocblas_check_numerics_sym_herm_tri_matrix_kernelILi16ELi16EPKPKdEvbiT1_lllP24rocblas_check_numerics_s.has_recursion, 0
	.set _ZL49rocblas_check_numerics_sym_herm_tri_matrix_kernelILi16ELi16EPKPKdEvbiT1_lllP24rocblas_check_numerics_s.has_indirect_call, 0
	.section	.AMDGPU.csdata,"",@progbits
; Kernel info:
; codeLenInByte = 788
; TotalNumSgprs: 14
; NumVgprs: 4
; ScratchSize: 0
; MemoryBound: 0
; FloatMode: 240
; IeeeMode: 1
; LDSByteSize: 0 bytes/workgroup (compile time only)
; SGPRBlocks: 0
; VGPRBlocks: 0
; NumSGPRsForWavesPerEU: 14
; NumVGPRsForWavesPerEU: 4
; NamedBarCnt: 0
; Occupancy: 16
; WaveLimiterHint : 1
; COMPUTE_PGM_RSRC2:SCRATCH_EN: 0
; COMPUTE_PGM_RSRC2:USER_SGPR: 2
; COMPUTE_PGM_RSRC2:TRAP_HANDLER: 0
; COMPUTE_PGM_RSRC2:TGID_X_EN: 1
; COMPUTE_PGM_RSRC2:TGID_Y_EN: 1
; COMPUTE_PGM_RSRC2:TGID_Z_EN: 1
; COMPUTE_PGM_RSRC2:TIDIG_COMP_CNT: 1
	.section	.text._ZL39rocblas_check_numerics_ge_matrix_kernelILi16ELi16EP19rocblas_complex_numIfEEviiT1_lllP24rocblas_check_numerics_s,"axG",@progbits,_ZL39rocblas_check_numerics_ge_matrix_kernelILi16ELi16EP19rocblas_complex_numIfEEviiT1_lllP24rocblas_check_numerics_s,comdat
	.globl	_ZL39rocblas_check_numerics_ge_matrix_kernelILi16ELi16EP19rocblas_complex_numIfEEviiT1_lllP24rocblas_check_numerics_s ; -- Begin function _ZL39rocblas_check_numerics_ge_matrix_kernelILi16ELi16EP19rocblas_complex_numIfEEviiT1_lllP24rocblas_check_numerics_s
	.p2align	8
	.type	_ZL39rocblas_check_numerics_ge_matrix_kernelILi16ELi16EP19rocblas_complex_numIfEEviiT1_lllP24rocblas_check_numerics_s,@function
_ZL39rocblas_check_numerics_ge_matrix_kernelILi16ELi16EP19rocblas_complex_numIfEEviiT1_lllP24rocblas_check_numerics_s: ; @_ZL39rocblas_check_numerics_ge_matrix_kernelILi16ELi16EP19rocblas_complex_numIfEEviiT1_lllP24rocblas_check_numerics_s
; %bb.0:
	s_clause 0x1
	s_load_b32 s4, s[0:1], 0x3c
	s_load_b64 s[2:3], s[0:1], 0x0
	s_bfe_u32 s6, ttmp6, 0x40010
	s_bfe_u32 s9, ttmp6, 0x4000c
	s_and_b32 s5, ttmp7, 0xffff
	s_add_co_i32 s6, s6, 1
	s_add_co_i32 s9, s9, 1
	s_bfe_u32 s7, ttmp6, 0x40004
	s_and_b32 s8, ttmp6, 15
	s_mul_i32 s6, s5, s6
	s_mul_i32 s9, ttmp9, s9
	s_getreg_b32 s12, hwreg(HW_REG_IB_STS2, 6, 4)
	v_and_b32_e32 v1, 0x3ff, v0
	v_bfe_u32 v2, v0, 10, 10
	s_add_co_i32 s7, s7, s6
	s_add_co_i32 s8, s8, s9
	s_wait_kmcnt 0x0
	s_lshr_b32 s6, s4, 16
	s_and_b32 s4, s4, 0xffff
	s_cmp_eq_u32 s12, 0
	s_cselect_b32 s8, ttmp9, s8
	s_cselect_b32 s5, s5, s7
	v_mad_u32 v0, s8, s4, v1
	v_mad_u32 v2, s5, s6, v2
	s_delay_alu instid0(VALU_DEP_2) | instskip(NEXT) | instid1(VALU_DEP_2)
	v_cmp_gt_i32_e32 vcc_lo, s2, v0
	v_cmp_gt_i32_e64 s2, s3, v2
	s_mov_b32 s3, 0
	s_and_b32 s2, vcc_lo, s2
	s_delay_alu instid0(SALU_CYCLE_1)
	s_and_saveexec_b32 s4, s2
	s_cbranch_execz .LBB16_12
; %bb.1:
	s_load_b256 s[4:11], s[0:1], 0x8
	v_ashrrev_i32_e32 v3, 31, v2
	s_bfe_u32 s2, ttmp6, 0x40008
	s_wait_kmcnt 0x0
	s_delay_alu instid0(VALU_DEP_1)
	v_mul_u64_e32 v[4:5], s[8:9], v[2:3]
	s_load_b64 s[8:9], s[0:1], 0x28
	v_mov_b32_e32 v2, 0
	s_wait_xcnt 0x0
	s_bfe_u32 s0, ttmp6, 0x40014
	s_lshr_b32 s1, ttmp7, 16
	s_add_co_i32 s0, s0, 1
	s_delay_alu instid0(SALU_CYCLE_1) | instskip(NEXT) | instid1(SALU_CYCLE_1)
	s_mul_i32 s0, s1, s0
	s_add_co_i32 s2, s2, s0
	s_cmp_eq_u32 s12, 0
	s_cselect_b32 s2, s1, s2
	s_delay_alu instid0(SALU_CYCLE_1) | instskip(SKIP_2) | instid1(SALU_CYCLE_1)
	s_mul_u64 s[0:1], s[10:11], s[2:3]
	s_lshl_b64 s[2:3], s[6:7], 3
	s_lshl_b64 s[0:1], s[0:1], 3
	s_add_nc_u64 s[0:1], s[4:5], s[0:1]
	s_delay_alu instid0(SALU_CYCLE_1)
	s_add_nc_u64 s[0:1], s[0:1], s[2:3]
	s_wait_kmcnt 0x0
	global_load_u8 v3, v2, s[8:9] offset:1
	v_ashrrev_i32_e32 v1, 31, v0
	v_lshl_add_u64 v[4:5], v[4:5], 3, s[0:1]
	s_wait_loadcnt 0x0
	v_and_b32_e32 v3, 1, v3
	s_delay_alu instid0(VALU_DEP_2) | instskip(NEXT) | instid1(VALU_DEP_2)
	v_lshl_add_u64 v[0:1], v[0:1], 3, v[4:5]
	v_cmp_eq_u32_e32 vcc_lo, 1, v3
	global_load_b64 v[0:1], v[0:1], off
	s_cbranch_vccnz .LBB16_5
; %bb.2:
	s_wait_loadcnt 0x0
	v_bitop3_b32 v3, v0, 0x7fffffff, v1 bitop3:0xc8
	s_mov_b32 s0, exec_lo
	s_delay_alu instid0(VALU_DEP_1)
	v_cmpx_eq_u32_e32 0, v3
	s_cbranch_execz .LBB16_4
; %bb.3:
	v_dual_mov_b32 v3, 0 :: v_dual_mov_b32 v4, 1
	global_store_b8 v3, v4, s[8:9] offset:1
.LBB16_4:
	s_wait_xcnt 0x0
	s_or_b32 exec_lo, exec_lo, s0
.LBB16_5:
	global_load_u8 v2, v2, s[8:9]
	s_wait_loadcnt 0x1
	v_cmp_u_f32_e32 vcc_lo, v0, v1
	s_wait_loadcnt 0x0
	v_readfirstlane_b32 s0, v2
	s_bitcmp1_b32 s0, 0
	s_cselect_b32 s0, -1, 0
	s_delay_alu instid0(SALU_CYCLE_1) | instskip(NEXT) | instid1(SALU_CYCLE_1)
	s_xor_b32 s0, s0, -1
	s_and_b32 s1, s0, vcc_lo
	s_wait_xcnt 0x0
	s_and_saveexec_b32 s0, s1
	s_cbranch_execz .LBB16_7
; %bb.6:
	v_dual_mov_b32 v2, 0 :: v_dual_mov_b32 v3, 1
	global_store_b8 v2, v3, s[8:9]
.LBB16_7:
	s_wait_xcnt 0x0
	s_or_b32 exec_lo, exec_lo, s0
	v_mov_b32_e32 v2, 0
	v_cmp_class_f32_e64 s1, v0, 0x204
	v_cmp_class_f32_e64 s2, v1, 0x204
	global_load_u8 v3, v2, s[8:9] offset:2
	s_wait_loadcnt 0x0
	v_readfirstlane_b32 s0, v3
	s_bitcmp1_b32 s0, 0
	s_cselect_b32 s0, -1, 0
	s_or_b32 s1, s1, s2
	s_xor_b32 s0, s0, -1
	s_delay_alu instid0(SALU_CYCLE_1)
	s_and_b32 s1, s0, s1
	s_wait_xcnt 0x0
	s_and_saveexec_b32 s0, s1
	s_cbranch_execz .LBB16_9
; %bb.8:
	v_mov_b32_e32 v3, 1
	global_store_b8 v2, v3, s[8:9] offset:2
.LBB16_9:
	s_wait_xcnt 0x0
	s_or_b32 exec_lo, exec_lo, s0
	global_load_u8 v2, v2, s[8:9] offset:3
	s_wait_loadcnt 0x0
	v_and_b32_e32 v2, 1, v2
	s_delay_alu instid0(VALU_DEP_1)
	v_cmp_eq_u32_e32 vcc_lo, 1, v2
	s_cbranch_vccnz .LBB16_12
; %bb.10:
	v_cmp_gt_f32_e32 vcc_lo, 0, v0
	v_cndmask_b32_e64 v0, v0, -v0, vcc_lo
	v_cmp_gt_f32_e32 vcc_lo, 0, v1
	v_cndmask_b32_e64 v1, v1, -v1, vcc_lo
	s_delay_alu instid0(VALU_DEP_3) | instskip(SKIP_1) | instid1(VALU_DEP_3)
	v_cmp_le_f32_e32 vcc_lo, 1, v0
	v_cmp_gt_f32_e64 s0, 0x800000, v0
	v_cmp_le_f32_e64 s1, 1, v1
	v_cmp_gt_f32_e64 s2, 0x800000, v1
	s_and_b32 s0, vcc_lo, s0
	s_and_b32 s1, s1, s2
	s_delay_alu instid0(SALU_CYCLE_1) | instskip(NEXT) | instid1(SALU_CYCLE_1)
	s_or_b32 s0, s0, s1
	s_and_b32 exec_lo, exec_lo, s0
	s_cbranch_execz .LBB16_12
; %bb.11:
	v_dual_mov_b32 v0, 0 :: v_dual_mov_b32 v1, 1
	global_store_b8 v0, v1, s[8:9] offset:3
.LBB16_12:
	s_endpgm
	.section	.rodata,"a",@progbits
	.p2align	6, 0x0
	.amdhsa_kernel _ZL39rocblas_check_numerics_ge_matrix_kernelILi16ELi16EP19rocblas_complex_numIfEEviiT1_lllP24rocblas_check_numerics_s
		.amdhsa_group_segment_fixed_size 0
		.amdhsa_private_segment_fixed_size 0
		.amdhsa_kernarg_size 304
		.amdhsa_user_sgpr_count 2
		.amdhsa_user_sgpr_dispatch_ptr 0
		.amdhsa_user_sgpr_queue_ptr 0
		.amdhsa_user_sgpr_kernarg_segment_ptr 1
		.amdhsa_user_sgpr_dispatch_id 0
		.amdhsa_user_sgpr_kernarg_preload_length 0
		.amdhsa_user_sgpr_kernarg_preload_offset 0
		.amdhsa_user_sgpr_private_segment_size 0
		.amdhsa_wavefront_size32 1
		.amdhsa_uses_dynamic_stack 0
		.amdhsa_enable_private_segment 0
		.amdhsa_system_sgpr_workgroup_id_x 1
		.amdhsa_system_sgpr_workgroup_id_y 1
		.amdhsa_system_sgpr_workgroup_id_z 1
		.amdhsa_system_sgpr_workgroup_info 0
		.amdhsa_system_vgpr_workitem_id 1
		.amdhsa_next_free_vgpr 6
		.amdhsa_next_free_sgpr 13
		.amdhsa_named_barrier_count 0
		.amdhsa_reserve_vcc 1
		.amdhsa_float_round_mode_32 0
		.amdhsa_float_round_mode_16_64 0
		.amdhsa_float_denorm_mode_32 3
		.amdhsa_float_denorm_mode_16_64 3
		.amdhsa_fp16_overflow 0
		.amdhsa_memory_ordered 1
		.amdhsa_forward_progress 1
		.amdhsa_inst_pref_size 6
		.amdhsa_round_robin_scheduling 0
		.amdhsa_exception_fp_ieee_invalid_op 0
		.amdhsa_exception_fp_denorm_src 0
		.amdhsa_exception_fp_ieee_div_zero 0
		.amdhsa_exception_fp_ieee_overflow 0
		.amdhsa_exception_fp_ieee_underflow 0
		.amdhsa_exception_fp_ieee_inexact 0
		.amdhsa_exception_int_div_zero 0
	.end_amdhsa_kernel
	.section	.text._ZL39rocblas_check_numerics_ge_matrix_kernelILi16ELi16EP19rocblas_complex_numIfEEviiT1_lllP24rocblas_check_numerics_s,"axG",@progbits,_ZL39rocblas_check_numerics_ge_matrix_kernelILi16ELi16EP19rocblas_complex_numIfEEviiT1_lllP24rocblas_check_numerics_s,comdat
.Lfunc_end16:
	.size	_ZL39rocblas_check_numerics_ge_matrix_kernelILi16ELi16EP19rocblas_complex_numIfEEviiT1_lllP24rocblas_check_numerics_s, .Lfunc_end16-_ZL39rocblas_check_numerics_ge_matrix_kernelILi16ELi16EP19rocblas_complex_numIfEEviiT1_lllP24rocblas_check_numerics_s
                                        ; -- End function
	.set _ZL39rocblas_check_numerics_ge_matrix_kernelILi16ELi16EP19rocblas_complex_numIfEEviiT1_lllP24rocblas_check_numerics_s.num_vgpr, 6
	.set _ZL39rocblas_check_numerics_ge_matrix_kernelILi16ELi16EP19rocblas_complex_numIfEEviiT1_lllP24rocblas_check_numerics_s.num_agpr, 0
	.set _ZL39rocblas_check_numerics_ge_matrix_kernelILi16ELi16EP19rocblas_complex_numIfEEviiT1_lllP24rocblas_check_numerics_s.numbered_sgpr, 13
	.set _ZL39rocblas_check_numerics_ge_matrix_kernelILi16ELi16EP19rocblas_complex_numIfEEviiT1_lllP24rocblas_check_numerics_s.num_named_barrier, 0
	.set _ZL39rocblas_check_numerics_ge_matrix_kernelILi16ELi16EP19rocblas_complex_numIfEEviiT1_lllP24rocblas_check_numerics_s.private_seg_size, 0
	.set _ZL39rocblas_check_numerics_ge_matrix_kernelILi16ELi16EP19rocblas_complex_numIfEEviiT1_lllP24rocblas_check_numerics_s.uses_vcc, 1
	.set _ZL39rocblas_check_numerics_ge_matrix_kernelILi16ELi16EP19rocblas_complex_numIfEEviiT1_lllP24rocblas_check_numerics_s.uses_flat_scratch, 0
	.set _ZL39rocblas_check_numerics_ge_matrix_kernelILi16ELi16EP19rocblas_complex_numIfEEviiT1_lllP24rocblas_check_numerics_s.has_dyn_sized_stack, 0
	.set _ZL39rocblas_check_numerics_ge_matrix_kernelILi16ELi16EP19rocblas_complex_numIfEEviiT1_lllP24rocblas_check_numerics_s.has_recursion, 0
	.set _ZL39rocblas_check_numerics_ge_matrix_kernelILi16ELi16EP19rocblas_complex_numIfEEviiT1_lllP24rocblas_check_numerics_s.has_indirect_call, 0
	.section	.AMDGPU.csdata,"",@progbits
; Kernel info:
; codeLenInByte = 760
; TotalNumSgprs: 15
; NumVgprs: 6
; ScratchSize: 0
; MemoryBound: 0
; FloatMode: 240
; IeeeMode: 1
; LDSByteSize: 0 bytes/workgroup (compile time only)
; SGPRBlocks: 0
; VGPRBlocks: 0
; NumSGPRsForWavesPerEU: 15
; NumVGPRsForWavesPerEU: 6
; NamedBarCnt: 0
; Occupancy: 16
; WaveLimiterHint : 0
; COMPUTE_PGM_RSRC2:SCRATCH_EN: 0
; COMPUTE_PGM_RSRC2:USER_SGPR: 2
; COMPUTE_PGM_RSRC2:TRAP_HANDLER: 0
; COMPUTE_PGM_RSRC2:TGID_X_EN: 1
; COMPUTE_PGM_RSRC2:TGID_Y_EN: 1
; COMPUTE_PGM_RSRC2:TGID_Z_EN: 1
; COMPUTE_PGM_RSRC2:TIDIG_COMP_CNT: 1
	.section	.text._ZL49rocblas_check_numerics_sym_herm_tri_matrix_kernelILi16ELi16EP19rocblas_complex_numIfEEvbiT1_lllP24rocblas_check_numerics_s,"axG",@progbits,_ZL49rocblas_check_numerics_sym_herm_tri_matrix_kernelILi16ELi16EP19rocblas_complex_numIfEEvbiT1_lllP24rocblas_check_numerics_s,comdat
	.globl	_ZL49rocblas_check_numerics_sym_herm_tri_matrix_kernelILi16ELi16EP19rocblas_complex_numIfEEvbiT1_lllP24rocblas_check_numerics_s ; -- Begin function _ZL49rocblas_check_numerics_sym_herm_tri_matrix_kernelILi16ELi16EP19rocblas_complex_numIfEEvbiT1_lllP24rocblas_check_numerics_s
	.p2align	8
	.type	_ZL49rocblas_check_numerics_sym_herm_tri_matrix_kernelILi16ELi16EP19rocblas_complex_numIfEEvbiT1_lllP24rocblas_check_numerics_s,@function
_ZL49rocblas_check_numerics_sym_herm_tri_matrix_kernelILi16ELi16EP19rocblas_complex_numIfEEvbiT1_lllP24rocblas_check_numerics_s: ; @_ZL49rocblas_check_numerics_sym_herm_tri_matrix_kernelILi16ELi16EP19rocblas_complex_numIfEEvbiT1_lllP24rocblas_check_numerics_s
; %bb.0:
	s_clause 0x1
	s_load_b64 s[2:3], s[0:1], 0x0
	s_load_b32 s4, s[0:1], 0x3c
	s_bfe_u32 s6, ttmp6, 0x4000c
	s_bfe_u32 s8, ttmp6, 0x40010
	s_and_b32 s7, ttmp7, 0xffff
	s_add_co_i32 s6, s6, 1
	s_add_co_i32 s8, s8, 1
	s_and_b32 s5, ttmp6, 15
	s_bfe_u32 s9, ttmp6, 0x40004
	s_mul_i32 s6, ttmp9, s6
	s_mul_i32 s8, s7, s8
	s_getreg_b32 s12, hwreg(HW_REG_IB_STS2, 6, 4)
	v_and_b32_e32 v1, 0x3ff, v0
	v_bfe_u32 v2, v0, 10, 10
	s_add_co_i32 s5, s5, s6
	s_add_co_i32 s9, s9, s8
	s_wait_kmcnt 0x0
	s_and_b32 s2, s2, 1
	s_lshr_b32 s6, s4, 16
	s_and_b32 s4, s4, 0xffff
	s_cmp_eq_u32 s12, 0
	s_cselect_b32 s5, ttmp9, s5
	s_cselect_b32 s7, s7, s9
	v_mad_u32 v0, s5, s4, v1
	v_mad_u32 v2, s7, s6, v2
	s_mov_b32 s4, 0
	s_cmp_eq_u32 s2, 0
	s_mov_b32 s2, -1
	s_cbranch_scc1 .LBB17_4
; %bb.1:
	s_and_not1_b32 vcc_lo, exec_lo, s2
	s_cbranch_vccz .LBB17_5
.LBB17_2:
	s_and_saveexec_b32 s2, s4
	s_cbranch_execnz .LBB17_6
.LBB17_3:
	s_endpgm
.LBB17_4:
	s_delay_alu instid0(VALU_DEP_2) | instskip(NEXT) | instid1(VALU_DEP_2)
	v_cmp_gt_i32_e32 vcc_lo, s3, v0
	v_cmp_le_i32_e64 s2, v2, v0
	s_and_b32 s4, vcc_lo, s2
	s_delay_alu instid0(SALU_CYCLE_1)
	s_and_b32 s4, s4, exec_lo
	s_cbranch_execnz .LBB17_2
.LBB17_5:
	s_delay_alu instid0(VALU_DEP_1) | instskip(NEXT) | instid1(VALU_DEP_3)
	v_cmp_gt_i32_e32 vcc_lo, s3, v2
	v_cmp_le_i32_e64 s2, v0, v2
	s_and_not1_b32 s3, s4, exec_lo
	s_and_b32 s2, vcc_lo, s2
	s_delay_alu instid0(SALU_CYCLE_1) | instskip(NEXT) | instid1(SALU_CYCLE_1)
	s_and_b32 s2, s2, exec_lo
	s_or_b32 s4, s3, s2
	s_delay_alu instid0(SALU_CYCLE_1)
	s_and_saveexec_b32 s2, s4
	s_cbranch_execz .LBB17_3
.LBB17_6:
	s_load_b256 s[4:11], s[0:1], 0x8
	s_delay_alu instid0(VALU_DEP_1) | instskip(SKIP_2) | instid1(VALU_DEP_1)
	v_ashrrev_i32_e32 v3, 31, v2
	s_lshr_b32 s2, ttmp7, 16
	s_wait_kmcnt 0x0
	v_mul_u64_e32 v[4:5], s[8:9], v[2:3]
	s_load_b64 s[8:9], s[0:1], 0x28
	v_mov_b32_e32 v2, 0
	s_wait_xcnt 0x0
	s_bfe_u32 s0, ttmp6, 0x40014
	s_bfe_u32 s1, ttmp6, 0x40008
	s_add_co_i32 s0, s0, 1
	s_delay_alu instid0(SALU_CYCLE_1) | instskip(NEXT) | instid1(SALU_CYCLE_1)
	s_mul_i32 s0, s2, s0
	s_add_co_i32 s0, s1, s0
	s_cmp_eq_u32 s12, 0
	s_mov_b32 s1, 0
	s_cselect_b32 s0, s2, s0
	s_lshl_b64 s[2:3], s[6:7], 3
	s_mul_u64 s[0:1], s[10:11], s[0:1]
	s_delay_alu instid0(SALU_CYCLE_1) | instskip(NEXT) | instid1(SALU_CYCLE_1)
	s_lshl_b64 s[0:1], s[0:1], 3
	s_add_nc_u64 s[0:1], s[4:5], s[0:1]
	s_delay_alu instid0(SALU_CYCLE_1)
	s_add_nc_u64 s[0:1], s[0:1], s[2:3]
	s_wait_kmcnt 0x0
	global_load_u8 v3, v2, s[8:9] offset:1
	v_ashrrev_i32_e32 v1, 31, v0
	v_lshl_add_u64 v[4:5], v[4:5], 3, s[0:1]
	s_wait_loadcnt 0x0
	v_and_b32_e32 v3, 1, v3
	s_delay_alu instid0(VALU_DEP_2) | instskip(NEXT) | instid1(VALU_DEP_2)
	v_lshl_add_u64 v[0:1], v[0:1], 3, v[4:5]
	v_cmp_eq_u32_e32 vcc_lo, 1, v3
	global_load_b64 v[0:1], v[0:1], off
	s_cbranch_vccnz .LBB17_10
; %bb.7:
	s_wait_loadcnt 0x0
	v_bitop3_b32 v3, v0, 0x7fffffff, v1 bitop3:0xc8
	s_mov_b32 s0, exec_lo
	s_delay_alu instid0(VALU_DEP_1)
	v_cmpx_eq_u32_e32 0, v3
	s_cbranch_execz .LBB17_9
; %bb.8:
	v_dual_mov_b32 v3, 0 :: v_dual_mov_b32 v4, 1
	global_store_b8 v3, v4, s[8:9] offset:1
.LBB17_9:
	s_wait_xcnt 0x0
	s_or_b32 exec_lo, exec_lo, s0
.LBB17_10:
	global_load_u8 v2, v2, s[8:9]
	s_wait_loadcnt 0x1
	v_cmp_u_f32_e32 vcc_lo, v0, v1
	s_wait_loadcnt 0x0
	v_readfirstlane_b32 s0, v2
	s_bitcmp1_b32 s0, 0
	s_cselect_b32 s0, -1, 0
	s_delay_alu instid0(SALU_CYCLE_1) | instskip(NEXT) | instid1(SALU_CYCLE_1)
	s_xor_b32 s0, s0, -1
	s_and_b32 s1, s0, vcc_lo
	s_wait_xcnt 0x0
	s_and_saveexec_b32 s0, s1
	s_cbranch_execz .LBB17_12
; %bb.11:
	v_dual_mov_b32 v2, 0 :: v_dual_mov_b32 v3, 1
	global_store_b8 v2, v3, s[8:9]
.LBB17_12:
	s_wait_xcnt 0x0
	s_or_b32 exec_lo, exec_lo, s0
	v_mov_b32_e32 v2, 0
	v_cmp_class_f32_e64 s1, v0, 0x204
	v_cmp_class_f32_e64 s2, v1, 0x204
	global_load_u8 v3, v2, s[8:9] offset:2
	s_wait_loadcnt 0x0
	v_readfirstlane_b32 s0, v3
	s_bitcmp1_b32 s0, 0
	s_cselect_b32 s0, -1, 0
	s_or_b32 s1, s1, s2
	s_xor_b32 s0, s0, -1
	s_delay_alu instid0(SALU_CYCLE_1)
	s_and_b32 s1, s0, s1
	s_wait_xcnt 0x0
	s_and_saveexec_b32 s0, s1
	s_cbranch_execz .LBB17_14
; %bb.13:
	v_mov_b32_e32 v3, 1
	global_store_b8 v2, v3, s[8:9] offset:2
.LBB17_14:
	s_wait_xcnt 0x0
	s_or_b32 exec_lo, exec_lo, s0
	global_load_u8 v2, v2, s[8:9] offset:3
	s_wait_loadcnt 0x0
	v_and_b32_e32 v2, 1, v2
	s_delay_alu instid0(VALU_DEP_1)
	v_cmp_eq_u32_e32 vcc_lo, 1, v2
	s_cbranch_vccnz .LBB17_3
; %bb.15:
	v_cmp_gt_f32_e32 vcc_lo, 0, v0
	v_cndmask_b32_e64 v0, v0, -v0, vcc_lo
	v_cmp_gt_f32_e32 vcc_lo, 0, v1
	v_cndmask_b32_e64 v1, v1, -v1, vcc_lo
	s_delay_alu instid0(VALU_DEP_3) | instskip(SKIP_1) | instid1(VALU_DEP_3)
	v_cmp_le_f32_e32 vcc_lo, 1, v0
	v_cmp_gt_f32_e64 s0, 0x800000, v0
	v_cmp_le_f32_e64 s1, 1, v1
	v_cmp_gt_f32_e64 s2, 0x800000, v1
	s_and_b32 s0, vcc_lo, s0
	s_and_b32 s1, s1, s2
	s_delay_alu instid0(SALU_CYCLE_1) | instskip(NEXT) | instid1(SALU_CYCLE_1)
	s_or_b32 s0, s0, s1
	s_and_b32 exec_lo, exec_lo, s0
	s_cbranch_execz .LBB17_3
; %bb.16:
	v_dual_mov_b32 v0, 0 :: v_dual_mov_b32 v1, 1
	global_store_b8 v0, v1, s[8:9] offset:3
	s_endpgm
	.section	.rodata,"a",@progbits
	.p2align	6, 0x0
	.amdhsa_kernel _ZL49rocblas_check_numerics_sym_herm_tri_matrix_kernelILi16ELi16EP19rocblas_complex_numIfEEvbiT1_lllP24rocblas_check_numerics_s
		.amdhsa_group_segment_fixed_size 0
		.amdhsa_private_segment_fixed_size 0
		.amdhsa_kernarg_size 304
		.amdhsa_user_sgpr_count 2
		.amdhsa_user_sgpr_dispatch_ptr 0
		.amdhsa_user_sgpr_queue_ptr 0
		.amdhsa_user_sgpr_kernarg_segment_ptr 1
		.amdhsa_user_sgpr_dispatch_id 0
		.amdhsa_user_sgpr_kernarg_preload_length 0
		.amdhsa_user_sgpr_kernarg_preload_offset 0
		.amdhsa_user_sgpr_private_segment_size 0
		.amdhsa_wavefront_size32 1
		.amdhsa_uses_dynamic_stack 0
		.amdhsa_enable_private_segment 0
		.amdhsa_system_sgpr_workgroup_id_x 1
		.amdhsa_system_sgpr_workgroup_id_y 1
		.amdhsa_system_sgpr_workgroup_id_z 1
		.amdhsa_system_sgpr_workgroup_info 0
		.amdhsa_system_vgpr_workitem_id 1
		.amdhsa_next_free_vgpr 6
		.amdhsa_next_free_sgpr 13
		.amdhsa_named_barrier_count 0
		.amdhsa_reserve_vcc 1
		.amdhsa_float_round_mode_32 0
		.amdhsa_float_round_mode_16_64 0
		.amdhsa_float_denorm_mode_32 3
		.amdhsa_float_denorm_mode_16_64 3
		.amdhsa_fp16_overflow 0
		.amdhsa_memory_ordered 1
		.amdhsa_forward_progress 1
		.amdhsa_inst_pref_size 7
		.amdhsa_round_robin_scheduling 0
		.amdhsa_exception_fp_ieee_invalid_op 0
		.amdhsa_exception_fp_denorm_src 0
		.amdhsa_exception_fp_ieee_div_zero 0
		.amdhsa_exception_fp_ieee_overflow 0
		.amdhsa_exception_fp_ieee_underflow 0
		.amdhsa_exception_fp_ieee_inexact 0
		.amdhsa_exception_int_div_zero 0
	.end_amdhsa_kernel
	.section	.text._ZL49rocblas_check_numerics_sym_herm_tri_matrix_kernelILi16ELi16EP19rocblas_complex_numIfEEvbiT1_lllP24rocblas_check_numerics_s,"axG",@progbits,_ZL49rocblas_check_numerics_sym_herm_tri_matrix_kernelILi16ELi16EP19rocblas_complex_numIfEEvbiT1_lllP24rocblas_check_numerics_s,comdat
.Lfunc_end17:
	.size	_ZL49rocblas_check_numerics_sym_herm_tri_matrix_kernelILi16ELi16EP19rocblas_complex_numIfEEvbiT1_lllP24rocblas_check_numerics_s, .Lfunc_end17-_ZL49rocblas_check_numerics_sym_herm_tri_matrix_kernelILi16ELi16EP19rocblas_complex_numIfEEvbiT1_lllP24rocblas_check_numerics_s
                                        ; -- End function
	.set _ZL49rocblas_check_numerics_sym_herm_tri_matrix_kernelILi16ELi16EP19rocblas_complex_numIfEEvbiT1_lllP24rocblas_check_numerics_s.num_vgpr, 6
	.set _ZL49rocblas_check_numerics_sym_herm_tri_matrix_kernelILi16ELi16EP19rocblas_complex_numIfEEvbiT1_lllP24rocblas_check_numerics_s.num_agpr, 0
	.set _ZL49rocblas_check_numerics_sym_herm_tri_matrix_kernelILi16ELi16EP19rocblas_complex_numIfEEvbiT1_lllP24rocblas_check_numerics_s.numbered_sgpr, 13
	.set _ZL49rocblas_check_numerics_sym_herm_tri_matrix_kernelILi16ELi16EP19rocblas_complex_numIfEEvbiT1_lllP24rocblas_check_numerics_s.num_named_barrier, 0
	.set _ZL49rocblas_check_numerics_sym_herm_tri_matrix_kernelILi16ELi16EP19rocblas_complex_numIfEEvbiT1_lllP24rocblas_check_numerics_s.private_seg_size, 0
	.set _ZL49rocblas_check_numerics_sym_herm_tri_matrix_kernelILi16ELi16EP19rocblas_complex_numIfEEvbiT1_lllP24rocblas_check_numerics_s.uses_vcc, 1
	.set _ZL49rocblas_check_numerics_sym_herm_tri_matrix_kernelILi16ELi16EP19rocblas_complex_numIfEEvbiT1_lllP24rocblas_check_numerics_s.uses_flat_scratch, 0
	.set _ZL49rocblas_check_numerics_sym_herm_tri_matrix_kernelILi16ELi16EP19rocblas_complex_numIfEEvbiT1_lllP24rocblas_check_numerics_s.has_dyn_sized_stack, 0
	.set _ZL49rocblas_check_numerics_sym_herm_tri_matrix_kernelILi16ELi16EP19rocblas_complex_numIfEEvbiT1_lllP24rocblas_check_numerics_s.has_recursion, 0
	.set _ZL49rocblas_check_numerics_sym_herm_tri_matrix_kernelILi16ELi16EP19rocblas_complex_numIfEEvbiT1_lllP24rocblas_check_numerics_s.has_indirect_call, 0
	.section	.AMDGPU.csdata,"",@progbits
; Kernel info:
; codeLenInByte = 848
; TotalNumSgprs: 15
; NumVgprs: 6
; ScratchSize: 0
; MemoryBound: 0
; FloatMode: 240
; IeeeMode: 1
; LDSByteSize: 0 bytes/workgroup (compile time only)
; SGPRBlocks: 0
; VGPRBlocks: 0
; NumSGPRsForWavesPerEU: 15
; NumVGPRsForWavesPerEU: 6
; NamedBarCnt: 0
; Occupancy: 16
; WaveLimiterHint : 0
; COMPUTE_PGM_RSRC2:SCRATCH_EN: 0
; COMPUTE_PGM_RSRC2:USER_SGPR: 2
; COMPUTE_PGM_RSRC2:TRAP_HANDLER: 0
; COMPUTE_PGM_RSRC2:TGID_X_EN: 1
; COMPUTE_PGM_RSRC2:TGID_Y_EN: 1
; COMPUTE_PGM_RSRC2:TGID_Z_EN: 1
; COMPUTE_PGM_RSRC2:TIDIG_COMP_CNT: 1
	.section	.text._ZL39rocblas_check_numerics_ge_matrix_kernelILi16ELi16EPKP19rocblas_complex_numIfEEviiT1_lllP24rocblas_check_numerics_s,"axG",@progbits,_ZL39rocblas_check_numerics_ge_matrix_kernelILi16ELi16EPKP19rocblas_complex_numIfEEviiT1_lllP24rocblas_check_numerics_s,comdat
	.globl	_ZL39rocblas_check_numerics_ge_matrix_kernelILi16ELi16EPKP19rocblas_complex_numIfEEviiT1_lllP24rocblas_check_numerics_s ; -- Begin function _ZL39rocblas_check_numerics_ge_matrix_kernelILi16ELi16EPKP19rocblas_complex_numIfEEviiT1_lllP24rocblas_check_numerics_s
	.p2align	8
	.type	_ZL39rocblas_check_numerics_ge_matrix_kernelILi16ELi16EPKP19rocblas_complex_numIfEEviiT1_lllP24rocblas_check_numerics_s,@function
_ZL39rocblas_check_numerics_ge_matrix_kernelILi16ELi16EPKP19rocblas_complex_numIfEEviiT1_lllP24rocblas_check_numerics_s: ; @_ZL39rocblas_check_numerics_ge_matrix_kernelILi16ELi16EPKP19rocblas_complex_numIfEEviiT1_lllP24rocblas_check_numerics_s
; %bb.0:
	s_clause 0x1
	s_load_b32 s2, s[0:1], 0x3c
	s_load_b64 s[4:5], s[0:1], 0x0
	s_bfe_u32 s7, ttmp6, 0x40010
	s_bfe_u32 s10, ttmp6, 0x4000c
	s_and_b32 s6, ttmp7, 0xffff
	s_add_co_i32 s7, s7, 1
	s_add_co_i32 s10, s10, 1
	s_bfe_u32 s8, ttmp6, 0x40004
	s_and_b32 s9, ttmp6, 15
	s_mul_i32 s7, s6, s7
	s_mul_i32 s10, ttmp9, s10
	s_getreg_b32 s3, hwreg(HW_REG_IB_STS2, 6, 4)
	v_and_b32_e32 v1, 0x3ff, v0
	v_bfe_u32 v2, v0, 10, 10
	s_add_co_i32 s8, s8, s7
	s_add_co_i32 s9, s9, s10
	s_wait_kmcnt 0x0
	s_lshr_b32 s7, s2, 16
	s_and_b32 s2, s2, 0xffff
	s_cmp_eq_u32 s3, 0
	s_cselect_b32 s9, ttmp9, s9
	s_cselect_b32 s6, s6, s8
	v_mad_u32 v0, s9, s2, v1
	v_mad_u32 v2, s6, s7, v2
	s_delay_alu instid0(VALU_DEP_2) | instskip(NEXT) | instid1(VALU_DEP_2)
	v_cmp_gt_i32_e32 vcc_lo, s4, v0
	v_cmp_gt_i32_e64 s2, s5, v2
	s_and_b32 s2, vcc_lo, s2
	s_delay_alu instid0(SALU_CYCLE_1)
	s_and_saveexec_b32 s4, s2
	s_cbranch_execz .LBB18_12
; %bb.1:
	s_clause 0x1
	s_load_b64 s[4:5], s[0:1], 0x18
	s_load_b128 s[8:11], s[0:1], 0x8
	v_ashrrev_i32_e32 v3, 31, v2
	s_bfe_u32 s2, ttmp6, 0x40014
	s_lshr_b32 s6, ttmp7, 16
	s_add_co_i32 s2, s2, 1
	s_delay_alu instid0(SALU_CYCLE_1)
	s_mul_i32 s2, s6, s2
	s_wait_kmcnt 0x0
	v_mul_u64_e32 v[4:5], s[4:5], v[2:3]
	s_bfe_u32 s4, ttmp6, 0x40008
	v_mov_b32_e32 v2, 0
	s_add_co_i32 s2, s4, s2
	s_load_b64 s[4:5], s[0:1], 0x28
	s_cmp_eq_u32 s3, 0
	s_wait_xcnt 0x0
	s_cselect_b32 s0, s6, s2
	s_lshl_b64 s[2:3], s[10:11], 3
	s_load_b64 s[0:1], s[8:9], s0 offset:0x0 scale_offset
	s_wait_kmcnt 0x0
	global_load_u8 v3, v2, s[4:5] offset:1
	v_ashrrev_i32_e32 v1, 31, v0
	s_add_nc_u64 s[0:1], s[0:1], s[2:3]
	s_delay_alu instid0(SALU_CYCLE_1) | instskip(SKIP_2) | instid1(VALU_DEP_2)
	v_lshl_add_u64 v[4:5], v[4:5], 3, s[0:1]
	s_wait_loadcnt 0x0
	v_and_b32_e32 v3, 1, v3
	v_lshl_add_u64 v[0:1], v[0:1], 3, v[4:5]
	s_delay_alu instid0(VALU_DEP_2)
	v_cmp_eq_u32_e32 vcc_lo, 1, v3
	flat_load_b64 v[0:1], v[0:1]
	s_cbranch_vccnz .LBB18_5
; %bb.2:
	s_wait_loadcnt_dscnt 0x0
	v_bitop3_b32 v3, v0, 0x7fffffff, v1 bitop3:0xc8
	s_mov_b32 s0, exec_lo
	s_delay_alu instid0(VALU_DEP_1)
	v_cmpx_eq_u32_e32 0, v3
	s_cbranch_execz .LBB18_4
; %bb.3:
	v_dual_mov_b32 v3, 0 :: v_dual_mov_b32 v4, 1
	global_store_b8 v3, v4, s[4:5] offset:1
.LBB18_4:
	s_wait_xcnt 0x0
	s_or_b32 exec_lo, exec_lo, s0
.LBB18_5:
	global_load_u8 v2, v2, s[4:5]
	s_wait_loadcnt_dscnt 0x100
	v_cmp_u_f32_e32 vcc_lo, v0, v1
	s_wait_loadcnt 0x0
	v_readfirstlane_b32 s0, v2
	s_bitcmp1_b32 s0, 0
	s_cselect_b32 s0, -1, 0
	s_delay_alu instid0(SALU_CYCLE_1) | instskip(NEXT) | instid1(SALU_CYCLE_1)
	s_xor_b32 s0, s0, -1
	s_and_b32 s1, s0, vcc_lo
	s_wait_xcnt 0x0
	s_and_saveexec_b32 s0, s1
	s_cbranch_execz .LBB18_7
; %bb.6:
	v_dual_mov_b32 v2, 0 :: v_dual_mov_b32 v3, 1
	global_store_b8 v2, v3, s[4:5]
.LBB18_7:
	s_wait_xcnt 0x0
	s_or_b32 exec_lo, exec_lo, s0
	v_mov_b32_e32 v2, 0
	v_cmp_class_f32_e64 s1, v0, 0x204
	v_cmp_class_f32_e64 s2, v1, 0x204
	global_load_u8 v3, v2, s[4:5] offset:2
	s_wait_loadcnt 0x0
	v_readfirstlane_b32 s0, v3
	s_bitcmp1_b32 s0, 0
	s_cselect_b32 s0, -1, 0
	s_or_b32 s1, s1, s2
	s_xor_b32 s0, s0, -1
	s_delay_alu instid0(SALU_CYCLE_1)
	s_and_b32 s1, s0, s1
	s_wait_xcnt 0x0
	s_and_saveexec_b32 s0, s1
	s_cbranch_execz .LBB18_9
; %bb.8:
	v_mov_b32_e32 v3, 1
	global_store_b8 v2, v3, s[4:5] offset:2
.LBB18_9:
	s_wait_xcnt 0x0
	s_or_b32 exec_lo, exec_lo, s0
	global_load_u8 v2, v2, s[4:5] offset:3
	s_wait_loadcnt 0x0
	v_and_b32_e32 v2, 1, v2
	s_delay_alu instid0(VALU_DEP_1)
	v_cmp_eq_u32_e32 vcc_lo, 1, v2
	s_cbranch_vccnz .LBB18_12
; %bb.10:
	v_cmp_gt_f32_e32 vcc_lo, 0, v0
	v_cndmask_b32_e64 v0, v0, -v0, vcc_lo
	v_cmp_gt_f32_e32 vcc_lo, 0, v1
	v_cndmask_b32_e64 v1, v1, -v1, vcc_lo
	s_delay_alu instid0(VALU_DEP_3) | instskip(SKIP_1) | instid1(VALU_DEP_3)
	v_cmp_le_f32_e32 vcc_lo, 1, v0
	v_cmp_gt_f32_e64 s0, 0x800000, v0
	v_cmp_le_f32_e64 s1, 1, v1
	v_cmp_gt_f32_e64 s2, 0x800000, v1
	s_and_b32 s0, vcc_lo, s0
	s_and_b32 s1, s1, s2
	s_delay_alu instid0(SALU_CYCLE_1) | instskip(NEXT) | instid1(SALU_CYCLE_1)
	s_or_b32 s0, s0, s1
	s_and_b32 exec_lo, exec_lo, s0
	s_cbranch_execz .LBB18_12
; %bb.11:
	v_dual_mov_b32 v0, 0 :: v_dual_mov_b32 v1, 1
	global_store_b8 v0, v1, s[4:5] offset:3
.LBB18_12:
	s_endpgm
	.section	.rodata,"a",@progbits
	.p2align	6, 0x0
	.amdhsa_kernel _ZL39rocblas_check_numerics_ge_matrix_kernelILi16ELi16EPKP19rocblas_complex_numIfEEviiT1_lllP24rocblas_check_numerics_s
		.amdhsa_group_segment_fixed_size 0
		.amdhsa_private_segment_fixed_size 0
		.amdhsa_kernarg_size 304
		.amdhsa_user_sgpr_count 2
		.amdhsa_user_sgpr_dispatch_ptr 0
		.amdhsa_user_sgpr_queue_ptr 0
		.amdhsa_user_sgpr_kernarg_segment_ptr 1
		.amdhsa_user_sgpr_dispatch_id 0
		.amdhsa_user_sgpr_kernarg_preload_length 0
		.amdhsa_user_sgpr_kernarg_preload_offset 0
		.amdhsa_user_sgpr_private_segment_size 0
		.amdhsa_wavefront_size32 1
		.amdhsa_uses_dynamic_stack 0
		.amdhsa_enable_private_segment 0
		.amdhsa_system_sgpr_workgroup_id_x 1
		.amdhsa_system_sgpr_workgroup_id_y 1
		.amdhsa_system_sgpr_workgroup_id_z 1
		.amdhsa_system_sgpr_workgroup_info 0
		.amdhsa_system_vgpr_workitem_id 1
		.amdhsa_next_free_vgpr 6
		.amdhsa_next_free_sgpr 12
		.amdhsa_named_barrier_count 0
		.amdhsa_reserve_vcc 1
		.amdhsa_float_round_mode_32 0
		.amdhsa_float_round_mode_16_64 0
		.amdhsa_float_denorm_mode_32 3
		.amdhsa_float_denorm_mode_16_64 3
		.amdhsa_fp16_overflow 0
		.amdhsa_memory_ordered 1
		.amdhsa_forward_progress 1
		.amdhsa_inst_pref_size 6
		.amdhsa_round_robin_scheduling 0
		.amdhsa_exception_fp_ieee_invalid_op 0
		.amdhsa_exception_fp_denorm_src 0
		.amdhsa_exception_fp_ieee_div_zero 0
		.amdhsa_exception_fp_ieee_overflow 0
		.amdhsa_exception_fp_ieee_underflow 0
		.amdhsa_exception_fp_ieee_inexact 0
		.amdhsa_exception_int_div_zero 0
	.end_amdhsa_kernel
	.section	.text._ZL39rocblas_check_numerics_ge_matrix_kernelILi16ELi16EPKP19rocblas_complex_numIfEEviiT1_lllP24rocblas_check_numerics_s,"axG",@progbits,_ZL39rocblas_check_numerics_ge_matrix_kernelILi16ELi16EPKP19rocblas_complex_numIfEEviiT1_lllP24rocblas_check_numerics_s,comdat
.Lfunc_end18:
	.size	_ZL39rocblas_check_numerics_ge_matrix_kernelILi16ELi16EPKP19rocblas_complex_numIfEEviiT1_lllP24rocblas_check_numerics_s, .Lfunc_end18-_ZL39rocblas_check_numerics_ge_matrix_kernelILi16ELi16EPKP19rocblas_complex_numIfEEviiT1_lllP24rocblas_check_numerics_s
                                        ; -- End function
	.set _ZL39rocblas_check_numerics_ge_matrix_kernelILi16ELi16EPKP19rocblas_complex_numIfEEviiT1_lllP24rocblas_check_numerics_s.num_vgpr, 6
	.set _ZL39rocblas_check_numerics_ge_matrix_kernelILi16ELi16EPKP19rocblas_complex_numIfEEviiT1_lllP24rocblas_check_numerics_s.num_agpr, 0
	.set _ZL39rocblas_check_numerics_ge_matrix_kernelILi16ELi16EPKP19rocblas_complex_numIfEEviiT1_lllP24rocblas_check_numerics_s.numbered_sgpr, 12
	.set _ZL39rocblas_check_numerics_ge_matrix_kernelILi16ELi16EPKP19rocblas_complex_numIfEEviiT1_lllP24rocblas_check_numerics_s.num_named_barrier, 0
	.set _ZL39rocblas_check_numerics_ge_matrix_kernelILi16ELi16EPKP19rocblas_complex_numIfEEviiT1_lllP24rocblas_check_numerics_s.private_seg_size, 0
	.set _ZL39rocblas_check_numerics_ge_matrix_kernelILi16ELi16EPKP19rocblas_complex_numIfEEviiT1_lllP24rocblas_check_numerics_s.uses_vcc, 1
	.set _ZL39rocblas_check_numerics_ge_matrix_kernelILi16ELi16EPKP19rocblas_complex_numIfEEviiT1_lllP24rocblas_check_numerics_s.uses_flat_scratch, 0
	.set _ZL39rocblas_check_numerics_ge_matrix_kernelILi16ELi16EPKP19rocblas_complex_numIfEEviiT1_lllP24rocblas_check_numerics_s.has_dyn_sized_stack, 0
	.set _ZL39rocblas_check_numerics_ge_matrix_kernelILi16ELi16EPKP19rocblas_complex_numIfEEviiT1_lllP24rocblas_check_numerics_s.has_recursion, 0
	.set _ZL39rocblas_check_numerics_ge_matrix_kernelILi16ELi16EPKP19rocblas_complex_numIfEEviiT1_lllP24rocblas_check_numerics_s.has_indirect_call, 0
	.section	.AMDGPU.csdata,"",@progbits
; Kernel info:
; codeLenInByte = 756
; TotalNumSgprs: 14
; NumVgprs: 6
; ScratchSize: 0
; MemoryBound: 0
; FloatMode: 240
; IeeeMode: 1
; LDSByteSize: 0 bytes/workgroup (compile time only)
; SGPRBlocks: 0
; VGPRBlocks: 0
; NumSGPRsForWavesPerEU: 14
; NumVGPRsForWavesPerEU: 6
; NamedBarCnt: 0
; Occupancy: 16
; WaveLimiterHint : 1
; COMPUTE_PGM_RSRC2:SCRATCH_EN: 0
; COMPUTE_PGM_RSRC2:USER_SGPR: 2
; COMPUTE_PGM_RSRC2:TRAP_HANDLER: 0
; COMPUTE_PGM_RSRC2:TGID_X_EN: 1
; COMPUTE_PGM_RSRC2:TGID_Y_EN: 1
; COMPUTE_PGM_RSRC2:TGID_Z_EN: 1
; COMPUTE_PGM_RSRC2:TIDIG_COMP_CNT: 1
	.section	.text._ZL49rocblas_check_numerics_sym_herm_tri_matrix_kernelILi16ELi16EPKP19rocblas_complex_numIfEEvbiT1_lllP24rocblas_check_numerics_s,"axG",@progbits,_ZL49rocblas_check_numerics_sym_herm_tri_matrix_kernelILi16ELi16EPKP19rocblas_complex_numIfEEvbiT1_lllP24rocblas_check_numerics_s,comdat
	.globl	_ZL49rocblas_check_numerics_sym_herm_tri_matrix_kernelILi16ELi16EPKP19rocblas_complex_numIfEEvbiT1_lllP24rocblas_check_numerics_s ; -- Begin function _ZL49rocblas_check_numerics_sym_herm_tri_matrix_kernelILi16ELi16EPKP19rocblas_complex_numIfEEvbiT1_lllP24rocblas_check_numerics_s
	.p2align	8
	.type	_ZL49rocblas_check_numerics_sym_herm_tri_matrix_kernelILi16ELi16EPKP19rocblas_complex_numIfEEvbiT1_lllP24rocblas_check_numerics_s,@function
_ZL49rocblas_check_numerics_sym_herm_tri_matrix_kernelILi16ELi16EPKP19rocblas_complex_numIfEEvbiT1_lllP24rocblas_check_numerics_s: ; @_ZL49rocblas_check_numerics_sym_herm_tri_matrix_kernelILi16ELi16EPKP19rocblas_complex_numIfEEvbiT1_lllP24rocblas_check_numerics_s
; %bb.0:
	s_clause 0x1
	s_load_b64 s[2:3], s[0:1], 0x0
	s_load_b32 s5, s[0:1], 0x3c
	s_bfe_u32 s7, ttmp6, 0x4000c
	s_bfe_u32 s9, ttmp6, 0x40010
	s_and_b32 s8, ttmp7, 0xffff
	s_add_co_i32 s7, s7, 1
	s_add_co_i32 s9, s9, 1
	s_and_b32 s6, ttmp6, 15
	s_bfe_u32 s10, ttmp6, 0x40004
	s_mul_i32 s7, ttmp9, s7
	s_mul_i32 s9, s8, s9
	s_getreg_b32 s4, hwreg(HW_REG_IB_STS2, 6, 4)
	v_and_b32_e32 v1, 0x3ff, v0
	v_bfe_u32 v2, v0, 10, 10
	s_add_co_i32 s6, s6, s7
	s_add_co_i32 s10, s10, s9
	s_wait_kmcnt 0x0
	s_and_b32 s2, s2, 1
	s_lshr_b32 s7, s5, 16
	s_and_b32 s5, s5, 0xffff
	s_cmp_eq_u32 s4, 0
	s_cselect_b32 s6, ttmp9, s6
	s_cselect_b32 s8, s8, s10
	v_mad_u32 v0, s6, s5, v1
	v_mad_u32 v2, s8, s7, v2
	s_mov_b32 s5, 0
	s_cmp_eq_u32 s2, 0
	s_mov_b32 s2, -1
	s_cbranch_scc1 .LBB19_4
; %bb.1:
	s_and_not1_b32 vcc_lo, exec_lo, s2
	s_cbranch_vccz .LBB19_5
.LBB19_2:
	s_and_saveexec_b32 s2, s5
	s_cbranch_execnz .LBB19_6
.LBB19_3:
	s_endpgm
.LBB19_4:
	s_delay_alu instid0(VALU_DEP_2) | instskip(NEXT) | instid1(VALU_DEP_2)
	v_cmp_gt_i32_e32 vcc_lo, s3, v0
	v_cmp_le_i32_e64 s2, v2, v0
	s_and_b32 s5, vcc_lo, s2
	s_delay_alu instid0(SALU_CYCLE_1)
	s_and_b32 s5, s5, exec_lo
	s_cbranch_execnz .LBB19_2
.LBB19_5:
	s_delay_alu instid0(VALU_DEP_1) | instskip(NEXT) | instid1(VALU_DEP_3)
	v_cmp_gt_i32_e32 vcc_lo, s3, v2
	v_cmp_le_i32_e64 s2, v0, v2
	s_and_not1_b32 s3, s5, exec_lo
	s_and_b32 s2, vcc_lo, s2
	s_delay_alu instid0(SALU_CYCLE_1) | instskip(NEXT) | instid1(SALU_CYCLE_1)
	s_and_b32 s2, s2, exec_lo
	s_or_b32 s5, s3, s2
	s_delay_alu instid0(SALU_CYCLE_1)
	s_and_saveexec_b32 s2, s5
	s_cbranch_execz .LBB19_3
.LBB19_6:
	s_clause 0x1
	s_load_b64 s[2:3], s[0:1], 0x18
	s_load_b128 s[8:11], s[0:1], 0x8
	v_ashrrev_i32_e32 v3, 31, v2
	s_bfe_u32 s5, ttmp6, 0x40014
	s_lshr_b32 s6, ttmp7, 16
	s_add_co_i32 s5, s5, 1
	s_wait_kmcnt 0x0
	v_mul_u64_e32 v[4:5], s[2:3], v[2:3]
	s_mul_i32 s2, s6, s5
	s_bfe_u32 s3, ttmp6, 0x40008
	v_mov_b32_e32 v2, 0
	s_add_co_i32 s3, s3, s2
	s_cmp_eq_u32 s4, 0
	s_load_b64 s[4:5], s[0:1], 0x28
	s_wait_xcnt 0x0
	s_cselect_b32 s0, s6, s3
	s_lshl_b64 s[2:3], s[10:11], 3
	s_load_b64 s[0:1], s[8:9], s0 offset:0x0 scale_offset
	s_wait_kmcnt 0x0
	global_load_u8 v3, v2, s[4:5] offset:1
	v_ashrrev_i32_e32 v1, 31, v0
	s_add_nc_u64 s[0:1], s[0:1], s[2:3]
	s_delay_alu instid0(SALU_CYCLE_1) | instskip(SKIP_2) | instid1(VALU_DEP_2)
	v_lshl_add_u64 v[4:5], v[4:5], 3, s[0:1]
	s_wait_loadcnt 0x0
	v_and_b32_e32 v3, 1, v3
	v_lshl_add_u64 v[0:1], v[0:1], 3, v[4:5]
	s_delay_alu instid0(VALU_DEP_2)
	v_cmp_eq_u32_e32 vcc_lo, 1, v3
	flat_load_b64 v[0:1], v[0:1]
	s_cbranch_vccnz .LBB19_10
; %bb.7:
	s_wait_loadcnt_dscnt 0x0
	v_bitop3_b32 v3, v0, 0x7fffffff, v1 bitop3:0xc8
	s_mov_b32 s0, exec_lo
	s_delay_alu instid0(VALU_DEP_1)
	v_cmpx_eq_u32_e32 0, v3
	s_cbranch_execz .LBB19_9
; %bb.8:
	v_dual_mov_b32 v3, 0 :: v_dual_mov_b32 v4, 1
	global_store_b8 v3, v4, s[4:5] offset:1
.LBB19_9:
	s_wait_xcnt 0x0
	s_or_b32 exec_lo, exec_lo, s0
.LBB19_10:
	global_load_u8 v2, v2, s[4:5]
	s_wait_loadcnt_dscnt 0x100
	v_cmp_u_f32_e32 vcc_lo, v0, v1
	s_wait_loadcnt 0x0
	v_readfirstlane_b32 s0, v2
	s_bitcmp1_b32 s0, 0
	s_cselect_b32 s0, -1, 0
	s_delay_alu instid0(SALU_CYCLE_1) | instskip(NEXT) | instid1(SALU_CYCLE_1)
	s_xor_b32 s0, s0, -1
	s_and_b32 s1, s0, vcc_lo
	s_wait_xcnt 0x0
	s_and_saveexec_b32 s0, s1
	s_cbranch_execz .LBB19_12
; %bb.11:
	v_dual_mov_b32 v2, 0 :: v_dual_mov_b32 v3, 1
	global_store_b8 v2, v3, s[4:5]
.LBB19_12:
	s_wait_xcnt 0x0
	s_or_b32 exec_lo, exec_lo, s0
	v_mov_b32_e32 v2, 0
	v_cmp_class_f32_e64 s1, v0, 0x204
	v_cmp_class_f32_e64 s2, v1, 0x204
	global_load_u8 v3, v2, s[4:5] offset:2
	s_wait_loadcnt 0x0
	v_readfirstlane_b32 s0, v3
	s_bitcmp1_b32 s0, 0
	s_cselect_b32 s0, -1, 0
	s_or_b32 s1, s1, s2
	s_xor_b32 s0, s0, -1
	s_delay_alu instid0(SALU_CYCLE_1)
	s_and_b32 s1, s0, s1
	s_wait_xcnt 0x0
	s_and_saveexec_b32 s0, s1
	s_cbranch_execz .LBB19_14
; %bb.13:
	v_mov_b32_e32 v3, 1
	global_store_b8 v2, v3, s[4:5] offset:2
.LBB19_14:
	s_wait_xcnt 0x0
	s_or_b32 exec_lo, exec_lo, s0
	global_load_u8 v2, v2, s[4:5] offset:3
	s_wait_loadcnt 0x0
	v_and_b32_e32 v2, 1, v2
	s_delay_alu instid0(VALU_DEP_1)
	v_cmp_eq_u32_e32 vcc_lo, 1, v2
	s_cbranch_vccnz .LBB19_3
; %bb.15:
	v_cmp_gt_f32_e32 vcc_lo, 0, v0
	v_cndmask_b32_e64 v0, v0, -v0, vcc_lo
	v_cmp_gt_f32_e32 vcc_lo, 0, v1
	v_cndmask_b32_e64 v1, v1, -v1, vcc_lo
	s_delay_alu instid0(VALU_DEP_3) | instskip(SKIP_1) | instid1(VALU_DEP_3)
	v_cmp_le_f32_e32 vcc_lo, 1, v0
	v_cmp_gt_f32_e64 s0, 0x800000, v0
	v_cmp_le_f32_e64 s1, 1, v1
	v_cmp_gt_f32_e64 s2, 0x800000, v1
	s_and_b32 s0, vcc_lo, s0
	s_and_b32 s1, s1, s2
	s_delay_alu instid0(SALU_CYCLE_1) | instskip(NEXT) | instid1(SALU_CYCLE_1)
	s_or_b32 s0, s0, s1
	s_and_b32 exec_lo, exec_lo, s0
	s_cbranch_execz .LBB19_3
; %bb.16:
	v_dual_mov_b32 v0, 0 :: v_dual_mov_b32 v1, 1
	global_store_b8 v0, v1, s[4:5] offset:3
	s_endpgm
	.section	.rodata,"a",@progbits
	.p2align	6, 0x0
	.amdhsa_kernel _ZL49rocblas_check_numerics_sym_herm_tri_matrix_kernelILi16ELi16EPKP19rocblas_complex_numIfEEvbiT1_lllP24rocblas_check_numerics_s
		.amdhsa_group_segment_fixed_size 0
		.amdhsa_private_segment_fixed_size 0
		.amdhsa_kernarg_size 304
		.amdhsa_user_sgpr_count 2
		.amdhsa_user_sgpr_dispatch_ptr 0
		.amdhsa_user_sgpr_queue_ptr 0
		.amdhsa_user_sgpr_kernarg_segment_ptr 1
		.amdhsa_user_sgpr_dispatch_id 0
		.amdhsa_user_sgpr_kernarg_preload_length 0
		.amdhsa_user_sgpr_kernarg_preload_offset 0
		.amdhsa_user_sgpr_private_segment_size 0
		.amdhsa_wavefront_size32 1
		.amdhsa_uses_dynamic_stack 0
		.amdhsa_enable_private_segment 0
		.amdhsa_system_sgpr_workgroup_id_x 1
		.amdhsa_system_sgpr_workgroup_id_y 1
		.amdhsa_system_sgpr_workgroup_id_z 1
		.amdhsa_system_sgpr_workgroup_info 0
		.amdhsa_system_vgpr_workitem_id 1
		.amdhsa_next_free_vgpr 6
		.amdhsa_next_free_sgpr 12
		.amdhsa_named_barrier_count 0
		.amdhsa_reserve_vcc 1
		.amdhsa_float_round_mode_32 0
		.amdhsa_float_round_mode_16_64 0
		.amdhsa_float_denorm_mode_32 3
		.amdhsa_float_denorm_mode_16_64 3
		.amdhsa_fp16_overflow 0
		.amdhsa_memory_ordered 1
		.amdhsa_forward_progress 1
		.amdhsa_inst_pref_size 7
		.amdhsa_round_robin_scheduling 0
		.amdhsa_exception_fp_ieee_invalid_op 0
		.amdhsa_exception_fp_denorm_src 0
		.amdhsa_exception_fp_ieee_div_zero 0
		.amdhsa_exception_fp_ieee_overflow 0
		.amdhsa_exception_fp_ieee_underflow 0
		.amdhsa_exception_fp_ieee_inexact 0
		.amdhsa_exception_int_div_zero 0
	.end_amdhsa_kernel
	.section	.text._ZL49rocblas_check_numerics_sym_herm_tri_matrix_kernelILi16ELi16EPKP19rocblas_complex_numIfEEvbiT1_lllP24rocblas_check_numerics_s,"axG",@progbits,_ZL49rocblas_check_numerics_sym_herm_tri_matrix_kernelILi16ELi16EPKP19rocblas_complex_numIfEEvbiT1_lllP24rocblas_check_numerics_s,comdat
.Lfunc_end19:
	.size	_ZL49rocblas_check_numerics_sym_herm_tri_matrix_kernelILi16ELi16EPKP19rocblas_complex_numIfEEvbiT1_lllP24rocblas_check_numerics_s, .Lfunc_end19-_ZL49rocblas_check_numerics_sym_herm_tri_matrix_kernelILi16ELi16EPKP19rocblas_complex_numIfEEvbiT1_lllP24rocblas_check_numerics_s
                                        ; -- End function
	.set _ZL49rocblas_check_numerics_sym_herm_tri_matrix_kernelILi16ELi16EPKP19rocblas_complex_numIfEEvbiT1_lllP24rocblas_check_numerics_s.num_vgpr, 6
	.set _ZL49rocblas_check_numerics_sym_herm_tri_matrix_kernelILi16ELi16EPKP19rocblas_complex_numIfEEvbiT1_lllP24rocblas_check_numerics_s.num_agpr, 0
	.set _ZL49rocblas_check_numerics_sym_herm_tri_matrix_kernelILi16ELi16EPKP19rocblas_complex_numIfEEvbiT1_lllP24rocblas_check_numerics_s.numbered_sgpr, 12
	.set _ZL49rocblas_check_numerics_sym_herm_tri_matrix_kernelILi16ELi16EPKP19rocblas_complex_numIfEEvbiT1_lllP24rocblas_check_numerics_s.num_named_barrier, 0
	.set _ZL49rocblas_check_numerics_sym_herm_tri_matrix_kernelILi16ELi16EPKP19rocblas_complex_numIfEEvbiT1_lllP24rocblas_check_numerics_s.private_seg_size, 0
	.set _ZL49rocblas_check_numerics_sym_herm_tri_matrix_kernelILi16ELi16EPKP19rocblas_complex_numIfEEvbiT1_lllP24rocblas_check_numerics_s.uses_vcc, 1
	.set _ZL49rocblas_check_numerics_sym_herm_tri_matrix_kernelILi16ELi16EPKP19rocblas_complex_numIfEEvbiT1_lllP24rocblas_check_numerics_s.uses_flat_scratch, 0
	.set _ZL49rocblas_check_numerics_sym_herm_tri_matrix_kernelILi16ELi16EPKP19rocblas_complex_numIfEEvbiT1_lllP24rocblas_check_numerics_s.has_dyn_sized_stack, 0
	.set _ZL49rocblas_check_numerics_sym_herm_tri_matrix_kernelILi16ELi16EPKP19rocblas_complex_numIfEEvbiT1_lllP24rocblas_check_numerics_s.has_recursion, 0
	.set _ZL49rocblas_check_numerics_sym_herm_tri_matrix_kernelILi16ELi16EPKP19rocblas_complex_numIfEEvbiT1_lllP24rocblas_check_numerics_s.has_indirect_call, 0
	.section	.AMDGPU.csdata,"",@progbits
; Kernel info:
; codeLenInByte = 840
; TotalNumSgprs: 14
; NumVgprs: 6
; ScratchSize: 0
; MemoryBound: 0
; FloatMode: 240
; IeeeMode: 1
; LDSByteSize: 0 bytes/workgroup (compile time only)
; SGPRBlocks: 0
; VGPRBlocks: 0
; NumSGPRsForWavesPerEU: 14
; NumVGPRsForWavesPerEU: 6
; NamedBarCnt: 0
; Occupancy: 16
; WaveLimiterHint : 1
; COMPUTE_PGM_RSRC2:SCRATCH_EN: 0
; COMPUTE_PGM_RSRC2:USER_SGPR: 2
; COMPUTE_PGM_RSRC2:TRAP_HANDLER: 0
; COMPUTE_PGM_RSRC2:TGID_X_EN: 1
; COMPUTE_PGM_RSRC2:TGID_Y_EN: 1
; COMPUTE_PGM_RSRC2:TGID_Z_EN: 1
; COMPUTE_PGM_RSRC2:TIDIG_COMP_CNT: 1
	.section	.text._ZL39rocblas_check_numerics_ge_matrix_kernelILi16ELi16EPK19rocblas_complex_numIfEEviiT1_lllP24rocblas_check_numerics_s,"axG",@progbits,_ZL39rocblas_check_numerics_ge_matrix_kernelILi16ELi16EPK19rocblas_complex_numIfEEviiT1_lllP24rocblas_check_numerics_s,comdat
	.globl	_ZL39rocblas_check_numerics_ge_matrix_kernelILi16ELi16EPK19rocblas_complex_numIfEEviiT1_lllP24rocblas_check_numerics_s ; -- Begin function _ZL39rocblas_check_numerics_ge_matrix_kernelILi16ELi16EPK19rocblas_complex_numIfEEviiT1_lllP24rocblas_check_numerics_s
	.p2align	8
	.type	_ZL39rocblas_check_numerics_ge_matrix_kernelILi16ELi16EPK19rocblas_complex_numIfEEviiT1_lllP24rocblas_check_numerics_s,@function
_ZL39rocblas_check_numerics_ge_matrix_kernelILi16ELi16EPK19rocblas_complex_numIfEEviiT1_lllP24rocblas_check_numerics_s: ; @_ZL39rocblas_check_numerics_ge_matrix_kernelILi16ELi16EPK19rocblas_complex_numIfEEviiT1_lllP24rocblas_check_numerics_s
; %bb.0:
	s_clause 0x1
	s_load_b32 s4, s[0:1], 0x3c
	s_load_b64 s[2:3], s[0:1], 0x0
	s_bfe_u32 s6, ttmp6, 0x40010
	s_bfe_u32 s9, ttmp6, 0x4000c
	s_and_b32 s5, ttmp7, 0xffff
	s_add_co_i32 s6, s6, 1
	s_add_co_i32 s9, s9, 1
	s_bfe_u32 s7, ttmp6, 0x40004
	s_and_b32 s8, ttmp6, 15
	s_mul_i32 s6, s5, s6
	s_mul_i32 s9, ttmp9, s9
	s_getreg_b32 s12, hwreg(HW_REG_IB_STS2, 6, 4)
	v_and_b32_e32 v1, 0x3ff, v0
	v_bfe_u32 v2, v0, 10, 10
	s_add_co_i32 s7, s7, s6
	s_add_co_i32 s8, s8, s9
	s_wait_kmcnt 0x0
	s_lshr_b32 s6, s4, 16
	s_and_b32 s4, s4, 0xffff
	s_cmp_eq_u32 s12, 0
	s_cselect_b32 s8, ttmp9, s8
	s_cselect_b32 s5, s5, s7
	v_mad_u32 v0, s8, s4, v1
	v_mad_u32 v2, s5, s6, v2
	s_delay_alu instid0(VALU_DEP_2) | instskip(NEXT) | instid1(VALU_DEP_2)
	v_cmp_gt_i32_e32 vcc_lo, s2, v0
	v_cmp_gt_i32_e64 s2, s3, v2
	s_mov_b32 s3, 0
	s_and_b32 s2, vcc_lo, s2
	s_delay_alu instid0(SALU_CYCLE_1)
	s_and_saveexec_b32 s4, s2
	s_cbranch_execz .LBB20_12
; %bb.1:
	s_load_b256 s[4:11], s[0:1], 0x8
	v_ashrrev_i32_e32 v3, 31, v2
	s_bfe_u32 s2, ttmp6, 0x40008
	s_wait_kmcnt 0x0
	s_delay_alu instid0(VALU_DEP_1)
	v_mul_u64_e32 v[4:5], s[8:9], v[2:3]
	s_load_b64 s[8:9], s[0:1], 0x28
	v_mov_b32_e32 v2, 0
	s_wait_xcnt 0x0
	s_bfe_u32 s0, ttmp6, 0x40014
	s_lshr_b32 s1, ttmp7, 16
	s_add_co_i32 s0, s0, 1
	s_delay_alu instid0(SALU_CYCLE_1) | instskip(NEXT) | instid1(SALU_CYCLE_1)
	s_mul_i32 s0, s1, s0
	s_add_co_i32 s2, s2, s0
	s_cmp_eq_u32 s12, 0
	s_cselect_b32 s2, s1, s2
	s_delay_alu instid0(SALU_CYCLE_1) | instskip(SKIP_2) | instid1(SALU_CYCLE_1)
	s_mul_u64 s[0:1], s[10:11], s[2:3]
	s_lshl_b64 s[2:3], s[6:7], 3
	s_lshl_b64 s[0:1], s[0:1], 3
	s_add_nc_u64 s[0:1], s[4:5], s[0:1]
	s_delay_alu instid0(SALU_CYCLE_1)
	s_add_nc_u64 s[0:1], s[0:1], s[2:3]
	s_wait_kmcnt 0x0
	global_load_u8 v3, v2, s[8:9] offset:1
	v_ashrrev_i32_e32 v1, 31, v0
	v_lshl_add_u64 v[4:5], v[4:5], 3, s[0:1]
	s_wait_loadcnt 0x0
	v_and_b32_e32 v3, 1, v3
	s_delay_alu instid0(VALU_DEP_2) | instskip(NEXT) | instid1(VALU_DEP_2)
	v_lshl_add_u64 v[0:1], v[0:1], 3, v[4:5]
	v_cmp_eq_u32_e32 vcc_lo, 1, v3
	global_load_b64 v[0:1], v[0:1], off
	s_cbranch_vccnz .LBB20_5
; %bb.2:
	s_wait_loadcnt 0x0
	v_bitop3_b32 v3, v0, 0x7fffffff, v1 bitop3:0xc8
	s_mov_b32 s0, exec_lo
	s_delay_alu instid0(VALU_DEP_1)
	v_cmpx_eq_u32_e32 0, v3
	s_cbranch_execz .LBB20_4
; %bb.3:
	v_dual_mov_b32 v3, 0 :: v_dual_mov_b32 v4, 1
	global_store_b8 v3, v4, s[8:9] offset:1
.LBB20_4:
	s_wait_xcnt 0x0
	s_or_b32 exec_lo, exec_lo, s0
.LBB20_5:
	global_load_u8 v2, v2, s[8:9]
	s_wait_loadcnt 0x1
	v_cmp_u_f32_e32 vcc_lo, v0, v1
	s_wait_loadcnt 0x0
	v_readfirstlane_b32 s0, v2
	s_bitcmp1_b32 s0, 0
	s_cselect_b32 s0, -1, 0
	s_delay_alu instid0(SALU_CYCLE_1) | instskip(NEXT) | instid1(SALU_CYCLE_1)
	s_xor_b32 s0, s0, -1
	s_and_b32 s1, s0, vcc_lo
	s_wait_xcnt 0x0
	s_and_saveexec_b32 s0, s1
	s_cbranch_execz .LBB20_7
; %bb.6:
	v_dual_mov_b32 v2, 0 :: v_dual_mov_b32 v3, 1
	global_store_b8 v2, v3, s[8:9]
.LBB20_7:
	s_wait_xcnt 0x0
	s_or_b32 exec_lo, exec_lo, s0
	v_mov_b32_e32 v2, 0
	v_cmp_class_f32_e64 s1, v0, 0x204
	v_cmp_class_f32_e64 s2, v1, 0x204
	global_load_u8 v3, v2, s[8:9] offset:2
	s_wait_loadcnt 0x0
	v_readfirstlane_b32 s0, v3
	s_bitcmp1_b32 s0, 0
	s_cselect_b32 s0, -1, 0
	s_or_b32 s1, s1, s2
	s_xor_b32 s0, s0, -1
	s_delay_alu instid0(SALU_CYCLE_1)
	s_and_b32 s1, s0, s1
	s_wait_xcnt 0x0
	s_and_saveexec_b32 s0, s1
	s_cbranch_execz .LBB20_9
; %bb.8:
	v_mov_b32_e32 v3, 1
	global_store_b8 v2, v3, s[8:9] offset:2
.LBB20_9:
	s_wait_xcnt 0x0
	s_or_b32 exec_lo, exec_lo, s0
	global_load_u8 v2, v2, s[8:9] offset:3
	s_wait_loadcnt 0x0
	v_and_b32_e32 v2, 1, v2
	s_delay_alu instid0(VALU_DEP_1)
	v_cmp_eq_u32_e32 vcc_lo, 1, v2
	s_cbranch_vccnz .LBB20_12
; %bb.10:
	v_cmp_gt_f32_e32 vcc_lo, 0, v0
	v_cndmask_b32_e64 v0, v0, -v0, vcc_lo
	v_cmp_gt_f32_e32 vcc_lo, 0, v1
	v_cndmask_b32_e64 v1, v1, -v1, vcc_lo
	s_delay_alu instid0(VALU_DEP_3) | instskip(SKIP_1) | instid1(VALU_DEP_3)
	v_cmp_le_f32_e32 vcc_lo, 1, v0
	v_cmp_gt_f32_e64 s0, 0x800000, v0
	v_cmp_le_f32_e64 s1, 1, v1
	v_cmp_gt_f32_e64 s2, 0x800000, v1
	s_and_b32 s0, vcc_lo, s0
	s_and_b32 s1, s1, s2
	s_delay_alu instid0(SALU_CYCLE_1) | instskip(NEXT) | instid1(SALU_CYCLE_1)
	s_or_b32 s0, s0, s1
	s_and_b32 exec_lo, exec_lo, s0
	s_cbranch_execz .LBB20_12
; %bb.11:
	v_dual_mov_b32 v0, 0 :: v_dual_mov_b32 v1, 1
	global_store_b8 v0, v1, s[8:9] offset:3
.LBB20_12:
	s_endpgm
	.section	.rodata,"a",@progbits
	.p2align	6, 0x0
	.amdhsa_kernel _ZL39rocblas_check_numerics_ge_matrix_kernelILi16ELi16EPK19rocblas_complex_numIfEEviiT1_lllP24rocblas_check_numerics_s
		.amdhsa_group_segment_fixed_size 0
		.amdhsa_private_segment_fixed_size 0
		.amdhsa_kernarg_size 304
		.amdhsa_user_sgpr_count 2
		.amdhsa_user_sgpr_dispatch_ptr 0
		.amdhsa_user_sgpr_queue_ptr 0
		.amdhsa_user_sgpr_kernarg_segment_ptr 1
		.amdhsa_user_sgpr_dispatch_id 0
		.amdhsa_user_sgpr_kernarg_preload_length 0
		.amdhsa_user_sgpr_kernarg_preload_offset 0
		.amdhsa_user_sgpr_private_segment_size 0
		.amdhsa_wavefront_size32 1
		.amdhsa_uses_dynamic_stack 0
		.amdhsa_enable_private_segment 0
		.amdhsa_system_sgpr_workgroup_id_x 1
		.amdhsa_system_sgpr_workgroup_id_y 1
		.amdhsa_system_sgpr_workgroup_id_z 1
		.amdhsa_system_sgpr_workgroup_info 0
		.amdhsa_system_vgpr_workitem_id 1
		.amdhsa_next_free_vgpr 6
		.amdhsa_next_free_sgpr 13
		.amdhsa_named_barrier_count 0
		.amdhsa_reserve_vcc 1
		.amdhsa_float_round_mode_32 0
		.amdhsa_float_round_mode_16_64 0
		.amdhsa_float_denorm_mode_32 3
		.amdhsa_float_denorm_mode_16_64 3
		.amdhsa_fp16_overflow 0
		.amdhsa_memory_ordered 1
		.amdhsa_forward_progress 1
		.amdhsa_inst_pref_size 6
		.amdhsa_round_robin_scheduling 0
		.amdhsa_exception_fp_ieee_invalid_op 0
		.amdhsa_exception_fp_denorm_src 0
		.amdhsa_exception_fp_ieee_div_zero 0
		.amdhsa_exception_fp_ieee_overflow 0
		.amdhsa_exception_fp_ieee_underflow 0
		.amdhsa_exception_fp_ieee_inexact 0
		.amdhsa_exception_int_div_zero 0
	.end_amdhsa_kernel
	.section	.text._ZL39rocblas_check_numerics_ge_matrix_kernelILi16ELi16EPK19rocblas_complex_numIfEEviiT1_lllP24rocblas_check_numerics_s,"axG",@progbits,_ZL39rocblas_check_numerics_ge_matrix_kernelILi16ELi16EPK19rocblas_complex_numIfEEviiT1_lllP24rocblas_check_numerics_s,comdat
.Lfunc_end20:
	.size	_ZL39rocblas_check_numerics_ge_matrix_kernelILi16ELi16EPK19rocblas_complex_numIfEEviiT1_lllP24rocblas_check_numerics_s, .Lfunc_end20-_ZL39rocblas_check_numerics_ge_matrix_kernelILi16ELi16EPK19rocblas_complex_numIfEEviiT1_lllP24rocblas_check_numerics_s
                                        ; -- End function
	.set _ZL39rocblas_check_numerics_ge_matrix_kernelILi16ELi16EPK19rocblas_complex_numIfEEviiT1_lllP24rocblas_check_numerics_s.num_vgpr, 6
	.set _ZL39rocblas_check_numerics_ge_matrix_kernelILi16ELi16EPK19rocblas_complex_numIfEEviiT1_lllP24rocblas_check_numerics_s.num_agpr, 0
	.set _ZL39rocblas_check_numerics_ge_matrix_kernelILi16ELi16EPK19rocblas_complex_numIfEEviiT1_lllP24rocblas_check_numerics_s.numbered_sgpr, 13
	.set _ZL39rocblas_check_numerics_ge_matrix_kernelILi16ELi16EPK19rocblas_complex_numIfEEviiT1_lllP24rocblas_check_numerics_s.num_named_barrier, 0
	.set _ZL39rocblas_check_numerics_ge_matrix_kernelILi16ELi16EPK19rocblas_complex_numIfEEviiT1_lllP24rocblas_check_numerics_s.private_seg_size, 0
	.set _ZL39rocblas_check_numerics_ge_matrix_kernelILi16ELi16EPK19rocblas_complex_numIfEEviiT1_lllP24rocblas_check_numerics_s.uses_vcc, 1
	.set _ZL39rocblas_check_numerics_ge_matrix_kernelILi16ELi16EPK19rocblas_complex_numIfEEviiT1_lllP24rocblas_check_numerics_s.uses_flat_scratch, 0
	.set _ZL39rocblas_check_numerics_ge_matrix_kernelILi16ELi16EPK19rocblas_complex_numIfEEviiT1_lllP24rocblas_check_numerics_s.has_dyn_sized_stack, 0
	.set _ZL39rocblas_check_numerics_ge_matrix_kernelILi16ELi16EPK19rocblas_complex_numIfEEviiT1_lllP24rocblas_check_numerics_s.has_recursion, 0
	.set _ZL39rocblas_check_numerics_ge_matrix_kernelILi16ELi16EPK19rocblas_complex_numIfEEviiT1_lllP24rocblas_check_numerics_s.has_indirect_call, 0
	.section	.AMDGPU.csdata,"",@progbits
; Kernel info:
; codeLenInByte = 760
; TotalNumSgprs: 15
; NumVgprs: 6
; ScratchSize: 0
; MemoryBound: 0
; FloatMode: 240
; IeeeMode: 1
; LDSByteSize: 0 bytes/workgroup (compile time only)
; SGPRBlocks: 0
; VGPRBlocks: 0
; NumSGPRsForWavesPerEU: 15
; NumVGPRsForWavesPerEU: 6
; NamedBarCnt: 0
; Occupancy: 16
; WaveLimiterHint : 0
; COMPUTE_PGM_RSRC2:SCRATCH_EN: 0
; COMPUTE_PGM_RSRC2:USER_SGPR: 2
; COMPUTE_PGM_RSRC2:TRAP_HANDLER: 0
; COMPUTE_PGM_RSRC2:TGID_X_EN: 1
; COMPUTE_PGM_RSRC2:TGID_Y_EN: 1
; COMPUTE_PGM_RSRC2:TGID_Z_EN: 1
; COMPUTE_PGM_RSRC2:TIDIG_COMP_CNT: 1
	.section	.text._ZL49rocblas_check_numerics_sym_herm_tri_matrix_kernelILi16ELi16EPK19rocblas_complex_numIfEEvbiT1_lllP24rocblas_check_numerics_s,"axG",@progbits,_ZL49rocblas_check_numerics_sym_herm_tri_matrix_kernelILi16ELi16EPK19rocblas_complex_numIfEEvbiT1_lllP24rocblas_check_numerics_s,comdat
	.globl	_ZL49rocblas_check_numerics_sym_herm_tri_matrix_kernelILi16ELi16EPK19rocblas_complex_numIfEEvbiT1_lllP24rocblas_check_numerics_s ; -- Begin function _ZL49rocblas_check_numerics_sym_herm_tri_matrix_kernelILi16ELi16EPK19rocblas_complex_numIfEEvbiT1_lllP24rocblas_check_numerics_s
	.p2align	8
	.type	_ZL49rocblas_check_numerics_sym_herm_tri_matrix_kernelILi16ELi16EPK19rocblas_complex_numIfEEvbiT1_lllP24rocblas_check_numerics_s,@function
_ZL49rocblas_check_numerics_sym_herm_tri_matrix_kernelILi16ELi16EPK19rocblas_complex_numIfEEvbiT1_lllP24rocblas_check_numerics_s: ; @_ZL49rocblas_check_numerics_sym_herm_tri_matrix_kernelILi16ELi16EPK19rocblas_complex_numIfEEvbiT1_lllP24rocblas_check_numerics_s
; %bb.0:
	s_clause 0x1
	s_load_b64 s[2:3], s[0:1], 0x0
	s_load_b32 s4, s[0:1], 0x3c
	s_bfe_u32 s6, ttmp6, 0x4000c
	s_bfe_u32 s8, ttmp6, 0x40010
	s_and_b32 s7, ttmp7, 0xffff
	s_add_co_i32 s6, s6, 1
	s_add_co_i32 s8, s8, 1
	s_and_b32 s5, ttmp6, 15
	s_bfe_u32 s9, ttmp6, 0x40004
	s_mul_i32 s6, ttmp9, s6
	s_mul_i32 s8, s7, s8
	s_getreg_b32 s12, hwreg(HW_REG_IB_STS2, 6, 4)
	v_and_b32_e32 v1, 0x3ff, v0
	v_bfe_u32 v2, v0, 10, 10
	s_add_co_i32 s5, s5, s6
	s_add_co_i32 s9, s9, s8
	s_wait_kmcnt 0x0
	s_and_b32 s2, s2, 1
	s_lshr_b32 s6, s4, 16
	s_and_b32 s4, s4, 0xffff
	s_cmp_eq_u32 s12, 0
	s_cselect_b32 s5, ttmp9, s5
	s_cselect_b32 s7, s7, s9
	v_mad_u32 v0, s5, s4, v1
	v_mad_u32 v2, s7, s6, v2
	s_mov_b32 s4, 0
	s_cmp_eq_u32 s2, 0
	s_mov_b32 s2, -1
	s_cbranch_scc1 .LBB21_4
; %bb.1:
	s_and_not1_b32 vcc_lo, exec_lo, s2
	s_cbranch_vccz .LBB21_5
.LBB21_2:
	s_and_saveexec_b32 s2, s4
	s_cbranch_execnz .LBB21_6
.LBB21_3:
	s_endpgm
.LBB21_4:
	s_delay_alu instid0(VALU_DEP_2) | instskip(NEXT) | instid1(VALU_DEP_2)
	v_cmp_gt_i32_e32 vcc_lo, s3, v0
	v_cmp_le_i32_e64 s2, v2, v0
	s_and_b32 s4, vcc_lo, s2
	s_delay_alu instid0(SALU_CYCLE_1)
	s_and_b32 s4, s4, exec_lo
	s_cbranch_execnz .LBB21_2
.LBB21_5:
	s_delay_alu instid0(VALU_DEP_1) | instskip(NEXT) | instid1(VALU_DEP_3)
	v_cmp_gt_i32_e32 vcc_lo, s3, v2
	v_cmp_le_i32_e64 s2, v0, v2
	s_and_not1_b32 s3, s4, exec_lo
	s_and_b32 s2, vcc_lo, s2
	s_delay_alu instid0(SALU_CYCLE_1) | instskip(NEXT) | instid1(SALU_CYCLE_1)
	s_and_b32 s2, s2, exec_lo
	s_or_b32 s4, s3, s2
	s_delay_alu instid0(SALU_CYCLE_1)
	s_and_saveexec_b32 s2, s4
	s_cbranch_execz .LBB21_3
.LBB21_6:
	s_load_b256 s[4:11], s[0:1], 0x8
	s_delay_alu instid0(VALU_DEP_1) | instskip(SKIP_2) | instid1(VALU_DEP_1)
	v_ashrrev_i32_e32 v3, 31, v2
	s_lshr_b32 s2, ttmp7, 16
	s_wait_kmcnt 0x0
	v_mul_u64_e32 v[4:5], s[8:9], v[2:3]
	s_load_b64 s[8:9], s[0:1], 0x28
	v_mov_b32_e32 v2, 0
	s_wait_xcnt 0x0
	s_bfe_u32 s0, ttmp6, 0x40014
	s_bfe_u32 s1, ttmp6, 0x40008
	s_add_co_i32 s0, s0, 1
	s_delay_alu instid0(SALU_CYCLE_1) | instskip(NEXT) | instid1(SALU_CYCLE_1)
	s_mul_i32 s0, s2, s0
	s_add_co_i32 s0, s1, s0
	s_cmp_eq_u32 s12, 0
	s_mov_b32 s1, 0
	s_cselect_b32 s0, s2, s0
	s_lshl_b64 s[2:3], s[6:7], 3
	s_mul_u64 s[0:1], s[10:11], s[0:1]
	s_delay_alu instid0(SALU_CYCLE_1) | instskip(NEXT) | instid1(SALU_CYCLE_1)
	s_lshl_b64 s[0:1], s[0:1], 3
	s_add_nc_u64 s[0:1], s[4:5], s[0:1]
	s_delay_alu instid0(SALU_CYCLE_1)
	s_add_nc_u64 s[0:1], s[0:1], s[2:3]
	s_wait_kmcnt 0x0
	global_load_u8 v3, v2, s[8:9] offset:1
	v_ashrrev_i32_e32 v1, 31, v0
	v_lshl_add_u64 v[4:5], v[4:5], 3, s[0:1]
	s_wait_loadcnt 0x0
	v_and_b32_e32 v3, 1, v3
	s_delay_alu instid0(VALU_DEP_2) | instskip(NEXT) | instid1(VALU_DEP_2)
	v_lshl_add_u64 v[0:1], v[0:1], 3, v[4:5]
	v_cmp_eq_u32_e32 vcc_lo, 1, v3
	global_load_b64 v[0:1], v[0:1], off
	s_cbranch_vccnz .LBB21_10
; %bb.7:
	s_wait_loadcnt 0x0
	v_bitop3_b32 v3, v0, 0x7fffffff, v1 bitop3:0xc8
	s_mov_b32 s0, exec_lo
	s_delay_alu instid0(VALU_DEP_1)
	v_cmpx_eq_u32_e32 0, v3
	s_cbranch_execz .LBB21_9
; %bb.8:
	v_dual_mov_b32 v3, 0 :: v_dual_mov_b32 v4, 1
	global_store_b8 v3, v4, s[8:9] offset:1
.LBB21_9:
	s_wait_xcnt 0x0
	s_or_b32 exec_lo, exec_lo, s0
.LBB21_10:
	global_load_u8 v2, v2, s[8:9]
	s_wait_loadcnt 0x1
	v_cmp_u_f32_e32 vcc_lo, v0, v1
	s_wait_loadcnt 0x0
	v_readfirstlane_b32 s0, v2
	s_bitcmp1_b32 s0, 0
	s_cselect_b32 s0, -1, 0
	s_delay_alu instid0(SALU_CYCLE_1) | instskip(NEXT) | instid1(SALU_CYCLE_1)
	s_xor_b32 s0, s0, -1
	s_and_b32 s1, s0, vcc_lo
	s_wait_xcnt 0x0
	s_and_saveexec_b32 s0, s1
	s_cbranch_execz .LBB21_12
; %bb.11:
	v_dual_mov_b32 v2, 0 :: v_dual_mov_b32 v3, 1
	global_store_b8 v2, v3, s[8:9]
.LBB21_12:
	s_wait_xcnt 0x0
	s_or_b32 exec_lo, exec_lo, s0
	v_mov_b32_e32 v2, 0
	v_cmp_class_f32_e64 s1, v0, 0x204
	v_cmp_class_f32_e64 s2, v1, 0x204
	global_load_u8 v3, v2, s[8:9] offset:2
	s_wait_loadcnt 0x0
	v_readfirstlane_b32 s0, v3
	s_bitcmp1_b32 s0, 0
	s_cselect_b32 s0, -1, 0
	s_or_b32 s1, s1, s2
	s_xor_b32 s0, s0, -1
	s_delay_alu instid0(SALU_CYCLE_1)
	s_and_b32 s1, s0, s1
	s_wait_xcnt 0x0
	s_and_saveexec_b32 s0, s1
	s_cbranch_execz .LBB21_14
; %bb.13:
	v_mov_b32_e32 v3, 1
	global_store_b8 v2, v3, s[8:9] offset:2
.LBB21_14:
	s_wait_xcnt 0x0
	s_or_b32 exec_lo, exec_lo, s0
	global_load_u8 v2, v2, s[8:9] offset:3
	s_wait_loadcnt 0x0
	v_and_b32_e32 v2, 1, v2
	s_delay_alu instid0(VALU_DEP_1)
	v_cmp_eq_u32_e32 vcc_lo, 1, v2
	s_cbranch_vccnz .LBB21_3
; %bb.15:
	v_cmp_gt_f32_e32 vcc_lo, 0, v0
	v_cndmask_b32_e64 v0, v0, -v0, vcc_lo
	v_cmp_gt_f32_e32 vcc_lo, 0, v1
	v_cndmask_b32_e64 v1, v1, -v1, vcc_lo
	s_delay_alu instid0(VALU_DEP_3) | instskip(SKIP_1) | instid1(VALU_DEP_3)
	v_cmp_le_f32_e32 vcc_lo, 1, v0
	v_cmp_gt_f32_e64 s0, 0x800000, v0
	v_cmp_le_f32_e64 s1, 1, v1
	v_cmp_gt_f32_e64 s2, 0x800000, v1
	s_and_b32 s0, vcc_lo, s0
	s_and_b32 s1, s1, s2
	s_delay_alu instid0(SALU_CYCLE_1) | instskip(NEXT) | instid1(SALU_CYCLE_1)
	s_or_b32 s0, s0, s1
	s_and_b32 exec_lo, exec_lo, s0
	s_cbranch_execz .LBB21_3
; %bb.16:
	v_dual_mov_b32 v0, 0 :: v_dual_mov_b32 v1, 1
	global_store_b8 v0, v1, s[8:9] offset:3
	s_endpgm
	.section	.rodata,"a",@progbits
	.p2align	6, 0x0
	.amdhsa_kernel _ZL49rocblas_check_numerics_sym_herm_tri_matrix_kernelILi16ELi16EPK19rocblas_complex_numIfEEvbiT1_lllP24rocblas_check_numerics_s
		.amdhsa_group_segment_fixed_size 0
		.amdhsa_private_segment_fixed_size 0
		.amdhsa_kernarg_size 304
		.amdhsa_user_sgpr_count 2
		.amdhsa_user_sgpr_dispatch_ptr 0
		.amdhsa_user_sgpr_queue_ptr 0
		.amdhsa_user_sgpr_kernarg_segment_ptr 1
		.amdhsa_user_sgpr_dispatch_id 0
		.amdhsa_user_sgpr_kernarg_preload_length 0
		.amdhsa_user_sgpr_kernarg_preload_offset 0
		.amdhsa_user_sgpr_private_segment_size 0
		.amdhsa_wavefront_size32 1
		.amdhsa_uses_dynamic_stack 0
		.amdhsa_enable_private_segment 0
		.amdhsa_system_sgpr_workgroup_id_x 1
		.amdhsa_system_sgpr_workgroup_id_y 1
		.amdhsa_system_sgpr_workgroup_id_z 1
		.amdhsa_system_sgpr_workgroup_info 0
		.amdhsa_system_vgpr_workitem_id 1
		.amdhsa_next_free_vgpr 6
		.amdhsa_next_free_sgpr 13
		.amdhsa_named_barrier_count 0
		.amdhsa_reserve_vcc 1
		.amdhsa_float_round_mode_32 0
		.amdhsa_float_round_mode_16_64 0
		.amdhsa_float_denorm_mode_32 3
		.amdhsa_float_denorm_mode_16_64 3
		.amdhsa_fp16_overflow 0
		.amdhsa_memory_ordered 1
		.amdhsa_forward_progress 1
		.amdhsa_inst_pref_size 7
		.amdhsa_round_robin_scheduling 0
		.amdhsa_exception_fp_ieee_invalid_op 0
		.amdhsa_exception_fp_denorm_src 0
		.amdhsa_exception_fp_ieee_div_zero 0
		.amdhsa_exception_fp_ieee_overflow 0
		.amdhsa_exception_fp_ieee_underflow 0
		.amdhsa_exception_fp_ieee_inexact 0
		.amdhsa_exception_int_div_zero 0
	.end_amdhsa_kernel
	.section	.text._ZL49rocblas_check_numerics_sym_herm_tri_matrix_kernelILi16ELi16EPK19rocblas_complex_numIfEEvbiT1_lllP24rocblas_check_numerics_s,"axG",@progbits,_ZL49rocblas_check_numerics_sym_herm_tri_matrix_kernelILi16ELi16EPK19rocblas_complex_numIfEEvbiT1_lllP24rocblas_check_numerics_s,comdat
.Lfunc_end21:
	.size	_ZL49rocblas_check_numerics_sym_herm_tri_matrix_kernelILi16ELi16EPK19rocblas_complex_numIfEEvbiT1_lllP24rocblas_check_numerics_s, .Lfunc_end21-_ZL49rocblas_check_numerics_sym_herm_tri_matrix_kernelILi16ELi16EPK19rocblas_complex_numIfEEvbiT1_lllP24rocblas_check_numerics_s
                                        ; -- End function
	.set _ZL49rocblas_check_numerics_sym_herm_tri_matrix_kernelILi16ELi16EPK19rocblas_complex_numIfEEvbiT1_lllP24rocblas_check_numerics_s.num_vgpr, 6
	.set _ZL49rocblas_check_numerics_sym_herm_tri_matrix_kernelILi16ELi16EPK19rocblas_complex_numIfEEvbiT1_lllP24rocblas_check_numerics_s.num_agpr, 0
	.set _ZL49rocblas_check_numerics_sym_herm_tri_matrix_kernelILi16ELi16EPK19rocblas_complex_numIfEEvbiT1_lllP24rocblas_check_numerics_s.numbered_sgpr, 13
	.set _ZL49rocblas_check_numerics_sym_herm_tri_matrix_kernelILi16ELi16EPK19rocblas_complex_numIfEEvbiT1_lllP24rocblas_check_numerics_s.num_named_barrier, 0
	.set _ZL49rocblas_check_numerics_sym_herm_tri_matrix_kernelILi16ELi16EPK19rocblas_complex_numIfEEvbiT1_lllP24rocblas_check_numerics_s.private_seg_size, 0
	.set _ZL49rocblas_check_numerics_sym_herm_tri_matrix_kernelILi16ELi16EPK19rocblas_complex_numIfEEvbiT1_lllP24rocblas_check_numerics_s.uses_vcc, 1
	.set _ZL49rocblas_check_numerics_sym_herm_tri_matrix_kernelILi16ELi16EPK19rocblas_complex_numIfEEvbiT1_lllP24rocblas_check_numerics_s.uses_flat_scratch, 0
	.set _ZL49rocblas_check_numerics_sym_herm_tri_matrix_kernelILi16ELi16EPK19rocblas_complex_numIfEEvbiT1_lllP24rocblas_check_numerics_s.has_dyn_sized_stack, 0
	.set _ZL49rocblas_check_numerics_sym_herm_tri_matrix_kernelILi16ELi16EPK19rocblas_complex_numIfEEvbiT1_lllP24rocblas_check_numerics_s.has_recursion, 0
	.set _ZL49rocblas_check_numerics_sym_herm_tri_matrix_kernelILi16ELi16EPK19rocblas_complex_numIfEEvbiT1_lllP24rocblas_check_numerics_s.has_indirect_call, 0
	.section	.AMDGPU.csdata,"",@progbits
; Kernel info:
; codeLenInByte = 848
; TotalNumSgprs: 15
; NumVgprs: 6
; ScratchSize: 0
; MemoryBound: 0
; FloatMode: 240
; IeeeMode: 1
; LDSByteSize: 0 bytes/workgroup (compile time only)
; SGPRBlocks: 0
; VGPRBlocks: 0
; NumSGPRsForWavesPerEU: 15
; NumVGPRsForWavesPerEU: 6
; NamedBarCnt: 0
; Occupancy: 16
; WaveLimiterHint : 0
; COMPUTE_PGM_RSRC2:SCRATCH_EN: 0
; COMPUTE_PGM_RSRC2:USER_SGPR: 2
; COMPUTE_PGM_RSRC2:TRAP_HANDLER: 0
; COMPUTE_PGM_RSRC2:TGID_X_EN: 1
; COMPUTE_PGM_RSRC2:TGID_Y_EN: 1
; COMPUTE_PGM_RSRC2:TGID_Z_EN: 1
; COMPUTE_PGM_RSRC2:TIDIG_COMP_CNT: 1
	.section	.text._ZL39rocblas_check_numerics_ge_matrix_kernelILi16ELi16EPKPK19rocblas_complex_numIfEEviiT1_lllP24rocblas_check_numerics_s,"axG",@progbits,_ZL39rocblas_check_numerics_ge_matrix_kernelILi16ELi16EPKPK19rocblas_complex_numIfEEviiT1_lllP24rocblas_check_numerics_s,comdat
	.globl	_ZL39rocblas_check_numerics_ge_matrix_kernelILi16ELi16EPKPK19rocblas_complex_numIfEEviiT1_lllP24rocblas_check_numerics_s ; -- Begin function _ZL39rocblas_check_numerics_ge_matrix_kernelILi16ELi16EPKPK19rocblas_complex_numIfEEviiT1_lllP24rocblas_check_numerics_s
	.p2align	8
	.type	_ZL39rocblas_check_numerics_ge_matrix_kernelILi16ELi16EPKPK19rocblas_complex_numIfEEviiT1_lllP24rocblas_check_numerics_s,@function
_ZL39rocblas_check_numerics_ge_matrix_kernelILi16ELi16EPKPK19rocblas_complex_numIfEEviiT1_lllP24rocblas_check_numerics_s: ; @_ZL39rocblas_check_numerics_ge_matrix_kernelILi16ELi16EPKPK19rocblas_complex_numIfEEviiT1_lllP24rocblas_check_numerics_s
; %bb.0:
	s_clause 0x1
	s_load_b32 s2, s[0:1], 0x3c
	s_load_b64 s[4:5], s[0:1], 0x0
	s_bfe_u32 s7, ttmp6, 0x40010
	s_bfe_u32 s10, ttmp6, 0x4000c
	s_and_b32 s6, ttmp7, 0xffff
	s_add_co_i32 s7, s7, 1
	s_add_co_i32 s10, s10, 1
	s_bfe_u32 s8, ttmp6, 0x40004
	s_and_b32 s9, ttmp6, 15
	s_mul_i32 s7, s6, s7
	s_mul_i32 s10, ttmp9, s10
	s_getreg_b32 s3, hwreg(HW_REG_IB_STS2, 6, 4)
	v_and_b32_e32 v1, 0x3ff, v0
	v_bfe_u32 v2, v0, 10, 10
	s_add_co_i32 s8, s8, s7
	s_add_co_i32 s9, s9, s10
	s_wait_kmcnt 0x0
	s_lshr_b32 s7, s2, 16
	s_and_b32 s2, s2, 0xffff
	s_cmp_eq_u32 s3, 0
	s_cselect_b32 s9, ttmp9, s9
	s_cselect_b32 s6, s6, s8
	v_mad_u32 v0, s9, s2, v1
	v_mad_u32 v2, s6, s7, v2
	s_delay_alu instid0(VALU_DEP_2) | instskip(NEXT) | instid1(VALU_DEP_2)
	v_cmp_gt_i32_e32 vcc_lo, s4, v0
	v_cmp_gt_i32_e64 s2, s5, v2
	s_and_b32 s2, vcc_lo, s2
	s_delay_alu instid0(SALU_CYCLE_1)
	s_and_saveexec_b32 s4, s2
	s_cbranch_execz .LBB22_12
; %bb.1:
	s_clause 0x1
	s_load_b64 s[4:5], s[0:1], 0x18
	s_load_b128 s[8:11], s[0:1], 0x8
	v_ashrrev_i32_e32 v3, 31, v2
	s_bfe_u32 s2, ttmp6, 0x40014
	s_lshr_b32 s6, ttmp7, 16
	s_add_co_i32 s2, s2, 1
	s_delay_alu instid0(SALU_CYCLE_1)
	s_mul_i32 s2, s6, s2
	s_wait_kmcnt 0x0
	v_mul_u64_e32 v[4:5], s[4:5], v[2:3]
	s_bfe_u32 s4, ttmp6, 0x40008
	v_mov_b32_e32 v2, 0
	s_add_co_i32 s2, s4, s2
	s_load_b64 s[4:5], s[0:1], 0x28
	s_cmp_eq_u32 s3, 0
	s_wait_xcnt 0x0
	s_cselect_b32 s0, s6, s2
	s_lshl_b64 s[2:3], s[10:11], 3
	s_load_b64 s[0:1], s[8:9], s0 offset:0x0 scale_offset
	s_wait_kmcnt 0x0
	global_load_u8 v3, v2, s[4:5] offset:1
	v_ashrrev_i32_e32 v1, 31, v0
	s_add_nc_u64 s[0:1], s[0:1], s[2:3]
	s_delay_alu instid0(SALU_CYCLE_1) | instskip(SKIP_2) | instid1(VALU_DEP_2)
	v_lshl_add_u64 v[4:5], v[4:5], 3, s[0:1]
	s_wait_loadcnt 0x0
	v_and_b32_e32 v3, 1, v3
	v_lshl_add_u64 v[0:1], v[0:1], 3, v[4:5]
	s_delay_alu instid0(VALU_DEP_2)
	v_cmp_eq_u32_e32 vcc_lo, 1, v3
	flat_load_b64 v[0:1], v[0:1]
	s_cbranch_vccnz .LBB22_5
; %bb.2:
	s_wait_loadcnt_dscnt 0x0
	v_bitop3_b32 v3, v0, 0x7fffffff, v1 bitop3:0xc8
	s_mov_b32 s0, exec_lo
	s_delay_alu instid0(VALU_DEP_1)
	v_cmpx_eq_u32_e32 0, v3
	s_cbranch_execz .LBB22_4
; %bb.3:
	v_dual_mov_b32 v3, 0 :: v_dual_mov_b32 v4, 1
	global_store_b8 v3, v4, s[4:5] offset:1
.LBB22_4:
	s_wait_xcnt 0x0
	s_or_b32 exec_lo, exec_lo, s0
.LBB22_5:
	global_load_u8 v2, v2, s[4:5]
	s_wait_loadcnt_dscnt 0x100
	v_cmp_u_f32_e32 vcc_lo, v0, v1
	s_wait_loadcnt 0x0
	v_readfirstlane_b32 s0, v2
	s_bitcmp1_b32 s0, 0
	s_cselect_b32 s0, -1, 0
	s_delay_alu instid0(SALU_CYCLE_1) | instskip(NEXT) | instid1(SALU_CYCLE_1)
	s_xor_b32 s0, s0, -1
	s_and_b32 s1, s0, vcc_lo
	s_wait_xcnt 0x0
	s_and_saveexec_b32 s0, s1
	s_cbranch_execz .LBB22_7
; %bb.6:
	v_dual_mov_b32 v2, 0 :: v_dual_mov_b32 v3, 1
	global_store_b8 v2, v3, s[4:5]
.LBB22_7:
	s_wait_xcnt 0x0
	s_or_b32 exec_lo, exec_lo, s0
	v_mov_b32_e32 v2, 0
	v_cmp_class_f32_e64 s1, v0, 0x204
	v_cmp_class_f32_e64 s2, v1, 0x204
	global_load_u8 v3, v2, s[4:5] offset:2
	s_wait_loadcnt 0x0
	v_readfirstlane_b32 s0, v3
	s_bitcmp1_b32 s0, 0
	s_cselect_b32 s0, -1, 0
	s_or_b32 s1, s1, s2
	s_xor_b32 s0, s0, -1
	s_delay_alu instid0(SALU_CYCLE_1)
	s_and_b32 s1, s0, s1
	s_wait_xcnt 0x0
	s_and_saveexec_b32 s0, s1
	s_cbranch_execz .LBB22_9
; %bb.8:
	v_mov_b32_e32 v3, 1
	global_store_b8 v2, v3, s[4:5] offset:2
.LBB22_9:
	s_wait_xcnt 0x0
	s_or_b32 exec_lo, exec_lo, s0
	global_load_u8 v2, v2, s[4:5] offset:3
	s_wait_loadcnt 0x0
	v_and_b32_e32 v2, 1, v2
	s_delay_alu instid0(VALU_DEP_1)
	v_cmp_eq_u32_e32 vcc_lo, 1, v2
	s_cbranch_vccnz .LBB22_12
; %bb.10:
	v_cmp_gt_f32_e32 vcc_lo, 0, v0
	v_cndmask_b32_e64 v0, v0, -v0, vcc_lo
	v_cmp_gt_f32_e32 vcc_lo, 0, v1
	v_cndmask_b32_e64 v1, v1, -v1, vcc_lo
	s_delay_alu instid0(VALU_DEP_3) | instskip(SKIP_1) | instid1(VALU_DEP_3)
	v_cmp_le_f32_e32 vcc_lo, 1, v0
	v_cmp_gt_f32_e64 s0, 0x800000, v0
	v_cmp_le_f32_e64 s1, 1, v1
	v_cmp_gt_f32_e64 s2, 0x800000, v1
	s_and_b32 s0, vcc_lo, s0
	s_and_b32 s1, s1, s2
	s_delay_alu instid0(SALU_CYCLE_1) | instskip(NEXT) | instid1(SALU_CYCLE_1)
	s_or_b32 s0, s0, s1
	s_and_b32 exec_lo, exec_lo, s0
	s_cbranch_execz .LBB22_12
; %bb.11:
	v_dual_mov_b32 v0, 0 :: v_dual_mov_b32 v1, 1
	global_store_b8 v0, v1, s[4:5] offset:3
.LBB22_12:
	s_endpgm
	.section	.rodata,"a",@progbits
	.p2align	6, 0x0
	.amdhsa_kernel _ZL39rocblas_check_numerics_ge_matrix_kernelILi16ELi16EPKPK19rocblas_complex_numIfEEviiT1_lllP24rocblas_check_numerics_s
		.amdhsa_group_segment_fixed_size 0
		.amdhsa_private_segment_fixed_size 0
		.amdhsa_kernarg_size 304
		.amdhsa_user_sgpr_count 2
		.amdhsa_user_sgpr_dispatch_ptr 0
		.amdhsa_user_sgpr_queue_ptr 0
		.amdhsa_user_sgpr_kernarg_segment_ptr 1
		.amdhsa_user_sgpr_dispatch_id 0
		.amdhsa_user_sgpr_kernarg_preload_length 0
		.amdhsa_user_sgpr_kernarg_preload_offset 0
		.amdhsa_user_sgpr_private_segment_size 0
		.amdhsa_wavefront_size32 1
		.amdhsa_uses_dynamic_stack 0
		.amdhsa_enable_private_segment 0
		.amdhsa_system_sgpr_workgroup_id_x 1
		.amdhsa_system_sgpr_workgroup_id_y 1
		.amdhsa_system_sgpr_workgroup_id_z 1
		.amdhsa_system_sgpr_workgroup_info 0
		.amdhsa_system_vgpr_workitem_id 1
		.amdhsa_next_free_vgpr 6
		.amdhsa_next_free_sgpr 12
		.amdhsa_named_barrier_count 0
		.amdhsa_reserve_vcc 1
		.amdhsa_float_round_mode_32 0
		.amdhsa_float_round_mode_16_64 0
		.amdhsa_float_denorm_mode_32 3
		.amdhsa_float_denorm_mode_16_64 3
		.amdhsa_fp16_overflow 0
		.amdhsa_memory_ordered 1
		.amdhsa_forward_progress 1
		.amdhsa_inst_pref_size 6
		.amdhsa_round_robin_scheduling 0
		.amdhsa_exception_fp_ieee_invalid_op 0
		.amdhsa_exception_fp_denorm_src 0
		.amdhsa_exception_fp_ieee_div_zero 0
		.amdhsa_exception_fp_ieee_overflow 0
		.amdhsa_exception_fp_ieee_underflow 0
		.amdhsa_exception_fp_ieee_inexact 0
		.amdhsa_exception_int_div_zero 0
	.end_amdhsa_kernel
	.section	.text._ZL39rocblas_check_numerics_ge_matrix_kernelILi16ELi16EPKPK19rocblas_complex_numIfEEviiT1_lllP24rocblas_check_numerics_s,"axG",@progbits,_ZL39rocblas_check_numerics_ge_matrix_kernelILi16ELi16EPKPK19rocblas_complex_numIfEEviiT1_lllP24rocblas_check_numerics_s,comdat
.Lfunc_end22:
	.size	_ZL39rocblas_check_numerics_ge_matrix_kernelILi16ELi16EPKPK19rocblas_complex_numIfEEviiT1_lllP24rocblas_check_numerics_s, .Lfunc_end22-_ZL39rocblas_check_numerics_ge_matrix_kernelILi16ELi16EPKPK19rocblas_complex_numIfEEviiT1_lllP24rocblas_check_numerics_s
                                        ; -- End function
	.set _ZL39rocblas_check_numerics_ge_matrix_kernelILi16ELi16EPKPK19rocblas_complex_numIfEEviiT1_lllP24rocblas_check_numerics_s.num_vgpr, 6
	.set _ZL39rocblas_check_numerics_ge_matrix_kernelILi16ELi16EPKPK19rocblas_complex_numIfEEviiT1_lllP24rocblas_check_numerics_s.num_agpr, 0
	.set _ZL39rocblas_check_numerics_ge_matrix_kernelILi16ELi16EPKPK19rocblas_complex_numIfEEviiT1_lllP24rocblas_check_numerics_s.numbered_sgpr, 12
	.set _ZL39rocblas_check_numerics_ge_matrix_kernelILi16ELi16EPKPK19rocblas_complex_numIfEEviiT1_lllP24rocblas_check_numerics_s.num_named_barrier, 0
	.set _ZL39rocblas_check_numerics_ge_matrix_kernelILi16ELi16EPKPK19rocblas_complex_numIfEEviiT1_lllP24rocblas_check_numerics_s.private_seg_size, 0
	.set _ZL39rocblas_check_numerics_ge_matrix_kernelILi16ELi16EPKPK19rocblas_complex_numIfEEviiT1_lllP24rocblas_check_numerics_s.uses_vcc, 1
	.set _ZL39rocblas_check_numerics_ge_matrix_kernelILi16ELi16EPKPK19rocblas_complex_numIfEEviiT1_lllP24rocblas_check_numerics_s.uses_flat_scratch, 0
	.set _ZL39rocblas_check_numerics_ge_matrix_kernelILi16ELi16EPKPK19rocblas_complex_numIfEEviiT1_lllP24rocblas_check_numerics_s.has_dyn_sized_stack, 0
	.set _ZL39rocblas_check_numerics_ge_matrix_kernelILi16ELi16EPKPK19rocblas_complex_numIfEEviiT1_lllP24rocblas_check_numerics_s.has_recursion, 0
	.set _ZL39rocblas_check_numerics_ge_matrix_kernelILi16ELi16EPKPK19rocblas_complex_numIfEEviiT1_lllP24rocblas_check_numerics_s.has_indirect_call, 0
	.section	.AMDGPU.csdata,"",@progbits
; Kernel info:
; codeLenInByte = 756
; TotalNumSgprs: 14
; NumVgprs: 6
; ScratchSize: 0
; MemoryBound: 0
; FloatMode: 240
; IeeeMode: 1
; LDSByteSize: 0 bytes/workgroup (compile time only)
; SGPRBlocks: 0
; VGPRBlocks: 0
; NumSGPRsForWavesPerEU: 14
; NumVGPRsForWavesPerEU: 6
; NamedBarCnt: 0
; Occupancy: 16
; WaveLimiterHint : 1
; COMPUTE_PGM_RSRC2:SCRATCH_EN: 0
; COMPUTE_PGM_RSRC2:USER_SGPR: 2
; COMPUTE_PGM_RSRC2:TRAP_HANDLER: 0
; COMPUTE_PGM_RSRC2:TGID_X_EN: 1
; COMPUTE_PGM_RSRC2:TGID_Y_EN: 1
; COMPUTE_PGM_RSRC2:TGID_Z_EN: 1
; COMPUTE_PGM_RSRC2:TIDIG_COMP_CNT: 1
	.section	.text._ZL49rocblas_check_numerics_sym_herm_tri_matrix_kernelILi16ELi16EPKPK19rocblas_complex_numIfEEvbiT1_lllP24rocblas_check_numerics_s,"axG",@progbits,_ZL49rocblas_check_numerics_sym_herm_tri_matrix_kernelILi16ELi16EPKPK19rocblas_complex_numIfEEvbiT1_lllP24rocblas_check_numerics_s,comdat
	.globl	_ZL49rocblas_check_numerics_sym_herm_tri_matrix_kernelILi16ELi16EPKPK19rocblas_complex_numIfEEvbiT1_lllP24rocblas_check_numerics_s ; -- Begin function _ZL49rocblas_check_numerics_sym_herm_tri_matrix_kernelILi16ELi16EPKPK19rocblas_complex_numIfEEvbiT1_lllP24rocblas_check_numerics_s
	.p2align	8
	.type	_ZL49rocblas_check_numerics_sym_herm_tri_matrix_kernelILi16ELi16EPKPK19rocblas_complex_numIfEEvbiT1_lllP24rocblas_check_numerics_s,@function
_ZL49rocblas_check_numerics_sym_herm_tri_matrix_kernelILi16ELi16EPKPK19rocblas_complex_numIfEEvbiT1_lllP24rocblas_check_numerics_s: ; @_ZL49rocblas_check_numerics_sym_herm_tri_matrix_kernelILi16ELi16EPKPK19rocblas_complex_numIfEEvbiT1_lllP24rocblas_check_numerics_s
; %bb.0:
	s_clause 0x1
	s_load_b64 s[2:3], s[0:1], 0x0
	s_load_b32 s5, s[0:1], 0x3c
	s_bfe_u32 s7, ttmp6, 0x4000c
	s_bfe_u32 s9, ttmp6, 0x40010
	s_and_b32 s8, ttmp7, 0xffff
	s_add_co_i32 s7, s7, 1
	s_add_co_i32 s9, s9, 1
	s_and_b32 s6, ttmp6, 15
	s_bfe_u32 s10, ttmp6, 0x40004
	s_mul_i32 s7, ttmp9, s7
	s_mul_i32 s9, s8, s9
	s_getreg_b32 s4, hwreg(HW_REG_IB_STS2, 6, 4)
	v_and_b32_e32 v1, 0x3ff, v0
	v_bfe_u32 v2, v0, 10, 10
	s_add_co_i32 s6, s6, s7
	s_add_co_i32 s10, s10, s9
	s_wait_kmcnt 0x0
	s_and_b32 s2, s2, 1
	s_lshr_b32 s7, s5, 16
	s_and_b32 s5, s5, 0xffff
	s_cmp_eq_u32 s4, 0
	s_cselect_b32 s6, ttmp9, s6
	s_cselect_b32 s8, s8, s10
	v_mad_u32 v0, s6, s5, v1
	v_mad_u32 v2, s8, s7, v2
	s_mov_b32 s5, 0
	s_cmp_eq_u32 s2, 0
	s_mov_b32 s2, -1
	s_cbranch_scc1 .LBB23_4
; %bb.1:
	s_and_not1_b32 vcc_lo, exec_lo, s2
	s_cbranch_vccz .LBB23_5
.LBB23_2:
	s_and_saveexec_b32 s2, s5
	s_cbranch_execnz .LBB23_6
.LBB23_3:
	s_endpgm
.LBB23_4:
	s_delay_alu instid0(VALU_DEP_2) | instskip(NEXT) | instid1(VALU_DEP_2)
	v_cmp_gt_i32_e32 vcc_lo, s3, v0
	v_cmp_le_i32_e64 s2, v2, v0
	s_and_b32 s5, vcc_lo, s2
	s_delay_alu instid0(SALU_CYCLE_1)
	s_and_b32 s5, s5, exec_lo
	s_cbranch_execnz .LBB23_2
.LBB23_5:
	s_delay_alu instid0(VALU_DEP_1) | instskip(NEXT) | instid1(VALU_DEP_3)
	v_cmp_gt_i32_e32 vcc_lo, s3, v2
	v_cmp_le_i32_e64 s2, v0, v2
	s_and_not1_b32 s3, s5, exec_lo
	s_and_b32 s2, vcc_lo, s2
	s_delay_alu instid0(SALU_CYCLE_1) | instskip(NEXT) | instid1(SALU_CYCLE_1)
	s_and_b32 s2, s2, exec_lo
	s_or_b32 s5, s3, s2
	s_delay_alu instid0(SALU_CYCLE_1)
	s_and_saveexec_b32 s2, s5
	s_cbranch_execz .LBB23_3
.LBB23_6:
	s_clause 0x1
	s_load_b64 s[2:3], s[0:1], 0x18
	s_load_b128 s[8:11], s[0:1], 0x8
	v_ashrrev_i32_e32 v3, 31, v2
	s_bfe_u32 s5, ttmp6, 0x40014
	s_lshr_b32 s6, ttmp7, 16
	s_add_co_i32 s5, s5, 1
	s_wait_kmcnt 0x0
	v_mul_u64_e32 v[4:5], s[2:3], v[2:3]
	s_mul_i32 s2, s6, s5
	s_bfe_u32 s3, ttmp6, 0x40008
	v_mov_b32_e32 v2, 0
	s_add_co_i32 s3, s3, s2
	s_cmp_eq_u32 s4, 0
	s_load_b64 s[4:5], s[0:1], 0x28
	s_wait_xcnt 0x0
	s_cselect_b32 s0, s6, s3
	s_lshl_b64 s[2:3], s[10:11], 3
	s_load_b64 s[0:1], s[8:9], s0 offset:0x0 scale_offset
	s_wait_kmcnt 0x0
	global_load_u8 v3, v2, s[4:5] offset:1
	v_ashrrev_i32_e32 v1, 31, v0
	s_add_nc_u64 s[0:1], s[0:1], s[2:3]
	s_delay_alu instid0(SALU_CYCLE_1) | instskip(SKIP_2) | instid1(VALU_DEP_2)
	v_lshl_add_u64 v[4:5], v[4:5], 3, s[0:1]
	s_wait_loadcnt 0x0
	v_and_b32_e32 v3, 1, v3
	v_lshl_add_u64 v[0:1], v[0:1], 3, v[4:5]
	s_delay_alu instid0(VALU_DEP_2)
	v_cmp_eq_u32_e32 vcc_lo, 1, v3
	flat_load_b64 v[0:1], v[0:1]
	s_cbranch_vccnz .LBB23_10
; %bb.7:
	s_wait_loadcnt_dscnt 0x0
	v_bitop3_b32 v3, v0, 0x7fffffff, v1 bitop3:0xc8
	s_mov_b32 s0, exec_lo
	s_delay_alu instid0(VALU_DEP_1)
	v_cmpx_eq_u32_e32 0, v3
	s_cbranch_execz .LBB23_9
; %bb.8:
	v_dual_mov_b32 v3, 0 :: v_dual_mov_b32 v4, 1
	global_store_b8 v3, v4, s[4:5] offset:1
.LBB23_9:
	s_wait_xcnt 0x0
	s_or_b32 exec_lo, exec_lo, s0
.LBB23_10:
	global_load_u8 v2, v2, s[4:5]
	s_wait_loadcnt_dscnt 0x100
	v_cmp_u_f32_e32 vcc_lo, v0, v1
	s_wait_loadcnt 0x0
	v_readfirstlane_b32 s0, v2
	s_bitcmp1_b32 s0, 0
	s_cselect_b32 s0, -1, 0
	s_delay_alu instid0(SALU_CYCLE_1) | instskip(NEXT) | instid1(SALU_CYCLE_1)
	s_xor_b32 s0, s0, -1
	s_and_b32 s1, s0, vcc_lo
	s_wait_xcnt 0x0
	s_and_saveexec_b32 s0, s1
	s_cbranch_execz .LBB23_12
; %bb.11:
	v_dual_mov_b32 v2, 0 :: v_dual_mov_b32 v3, 1
	global_store_b8 v2, v3, s[4:5]
.LBB23_12:
	s_wait_xcnt 0x0
	s_or_b32 exec_lo, exec_lo, s0
	v_mov_b32_e32 v2, 0
	v_cmp_class_f32_e64 s1, v0, 0x204
	v_cmp_class_f32_e64 s2, v1, 0x204
	global_load_u8 v3, v2, s[4:5] offset:2
	s_wait_loadcnt 0x0
	v_readfirstlane_b32 s0, v3
	s_bitcmp1_b32 s0, 0
	s_cselect_b32 s0, -1, 0
	s_or_b32 s1, s1, s2
	s_xor_b32 s0, s0, -1
	s_delay_alu instid0(SALU_CYCLE_1)
	s_and_b32 s1, s0, s1
	s_wait_xcnt 0x0
	s_and_saveexec_b32 s0, s1
	s_cbranch_execz .LBB23_14
; %bb.13:
	v_mov_b32_e32 v3, 1
	global_store_b8 v2, v3, s[4:5] offset:2
.LBB23_14:
	s_wait_xcnt 0x0
	s_or_b32 exec_lo, exec_lo, s0
	global_load_u8 v2, v2, s[4:5] offset:3
	s_wait_loadcnt 0x0
	v_and_b32_e32 v2, 1, v2
	s_delay_alu instid0(VALU_DEP_1)
	v_cmp_eq_u32_e32 vcc_lo, 1, v2
	s_cbranch_vccnz .LBB23_3
; %bb.15:
	v_cmp_gt_f32_e32 vcc_lo, 0, v0
	v_cndmask_b32_e64 v0, v0, -v0, vcc_lo
	v_cmp_gt_f32_e32 vcc_lo, 0, v1
	v_cndmask_b32_e64 v1, v1, -v1, vcc_lo
	s_delay_alu instid0(VALU_DEP_3) | instskip(SKIP_1) | instid1(VALU_DEP_3)
	v_cmp_le_f32_e32 vcc_lo, 1, v0
	v_cmp_gt_f32_e64 s0, 0x800000, v0
	v_cmp_le_f32_e64 s1, 1, v1
	v_cmp_gt_f32_e64 s2, 0x800000, v1
	s_and_b32 s0, vcc_lo, s0
	s_and_b32 s1, s1, s2
	s_delay_alu instid0(SALU_CYCLE_1) | instskip(NEXT) | instid1(SALU_CYCLE_1)
	s_or_b32 s0, s0, s1
	s_and_b32 exec_lo, exec_lo, s0
	s_cbranch_execz .LBB23_3
; %bb.16:
	v_dual_mov_b32 v0, 0 :: v_dual_mov_b32 v1, 1
	global_store_b8 v0, v1, s[4:5] offset:3
	s_endpgm
	.section	.rodata,"a",@progbits
	.p2align	6, 0x0
	.amdhsa_kernel _ZL49rocblas_check_numerics_sym_herm_tri_matrix_kernelILi16ELi16EPKPK19rocblas_complex_numIfEEvbiT1_lllP24rocblas_check_numerics_s
		.amdhsa_group_segment_fixed_size 0
		.amdhsa_private_segment_fixed_size 0
		.amdhsa_kernarg_size 304
		.amdhsa_user_sgpr_count 2
		.amdhsa_user_sgpr_dispatch_ptr 0
		.amdhsa_user_sgpr_queue_ptr 0
		.amdhsa_user_sgpr_kernarg_segment_ptr 1
		.amdhsa_user_sgpr_dispatch_id 0
		.amdhsa_user_sgpr_kernarg_preload_length 0
		.amdhsa_user_sgpr_kernarg_preload_offset 0
		.amdhsa_user_sgpr_private_segment_size 0
		.amdhsa_wavefront_size32 1
		.amdhsa_uses_dynamic_stack 0
		.amdhsa_enable_private_segment 0
		.amdhsa_system_sgpr_workgroup_id_x 1
		.amdhsa_system_sgpr_workgroup_id_y 1
		.amdhsa_system_sgpr_workgroup_id_z 1
		.amdhsa_system_sgpr_workgroup_info 0
		.amdhsa_system_vgpr_workitem_id 1
		.amdhsa_next_free_vgpr 6
		.amdhsa_next_free_sgpr 12
		.amdhsa_named_barrier_count 0
		.amdhsa_reserve_vcc 1
		.amdhsa_float_round_mode_32 0
		.amdhsa_float_round_mode_16_64 0
		.amdhsa_float_denorm_mode_32 3
		.amdhsa_float_denorm_mode_16_64 3
		.amdhsa_fp16_overflow 0
		.amdhsa_memory_ordered 1
		.amdhsa_forward_progress 1
		.amdhsa_inst_pref_size 7
		.amdhsa_round_robin_scheduling 0
		.amdhsa_exception_fp_ieee_invalid_op 0
		.amdhsa_exception_fp_denorm_src 0
		.amdhsa_exception_fp_ieee_div_zero 0
		.amdhsa_exception_fp_ieee_overflow 0
		.amdhsa_exception_fp_ieee_underflow 0
		.amdhsa_exception_fp_ieee_inexact 0
		.amdhsa_exception_int_div_zero 0
	.end_amdhsa_kernel
	.section	.text._ZL49rocblas_check_numerics_sym_herm_tri_matrix_kernelILi16ELi16EPKPK19rocblas_complex_numIfEEvbiT1_lllP24rocblas_check_numerics_s,"axG",@progbits,_ZL49rocblas_check_numerics_sym_herm_tri_matrix_kernelILi16ELi16EPKPK19rocblas_complex_numIfEEvbiT1_lllP24rocblas_check_numerics_s,comdat
.Lfunc_end23:
	.size	_ZL49rocblas_check_numerics_sym_herm_tri_matrix_kernelILi16ELi16EPKPK19rocblas_complex_numIfEEvbiT1_lllP24rocblas_check_numerics_s, .Lfunc_end23-_ZL49rocblas_check_numerics_sym_herm_tri_matrix_kernelILi16ELi16EPKPK19rocblas_complex_numIfEEvbiT1_lllP24rocblas_check_numerics_s
                                        ; -- End function
	.set _ZL49rocblas_check_numerics_sym_herm_tri_matrix_kernelILi16ELi16EPKPK19rocblas_complex_numIfEEvbiT1_lllP24rocblas_check_numerics_s.num_vgpr, 6
	.set _ZL49rocblas_check_numerics_sym_herm_tri_matrix_kernelILi16ELi16EPKPK19rocblas_complex_numIfEEvbiT1_lllP24rocblas_check_numerics_s.num_agpr, 0
	.set _ZL49rocblas_check_numerics_sym_herm_tri_matrix_kernelILi16ELi16EPKPK19rocblas_complex_numIfEEvbiT1_lllP24rocblas_check_numerics_s.numbered_sgpr, 12
	.set _ZL49rocblas_check_numerics_sym_herm_tri_matrix_kernelILi16ELi16EPKPK19rocblas_complex_numIfEEvbiT1_lllP24rocblas_check_numerics_s.num_named_barrier, 0
	.set _ZL49rocblas_check_numerics_sym_herm_tri_matrix_kernelILi16ELi16EPKPK19rocblas_complex_numIfEEvbiT1_lllP24rocblas_check_numerics_s.private_seg_size, 0
	.set _ZL49rocblas_check_numerics_sym_herm_tri_matrix_kernelILi16ELi16EPKPK19rocblas_complex_numIfEEvbiT1_lllP24rocblas_check_numerics_s.uses_vcc, 1
	.set _ZL49rocblas_check_numerics_sym_herm_tri_matrix_kernelILi16ELi16EPKPK19rocblas_complex_numIfEEvbiT1_lllP24rocblas_check_numerics_s.uses_flat_scratch, 0
	.set _ZL49rocblas_check_numerics_sym_herm_tri_matrix_kernelILi16ELi16EPKPK19rocblas_complex_numIfEEvbiT1_lllP24rocblas_check_numerics_s.has_dyn_sized_stack, 0
	.set _ZL49rocblas_check_numerics_sym_herm_tri_matrix_kernelILi16ELi16EPKPK19rocblas_complex_numIfEEvbiT1_lllP24rocblas_check_numerics_s.has_recursion, 0
	.set _ZL49rocblas_check_numerics_sym_herm_tri_matrix_kernelILi16ELi16EPKPK19rocblas_complex_numIfEEvbiT1_lllP24rocblas_check_numerics_s.has_indirect_call, 0
	.section	.AMDGPU.csdata,"",@progbits
; Kernel info:
; codeLenInByte = 840
; TotalNumSgprs: 14
; NumVgprs: 6
; ScratchSize: 0
; MemoryBound: 0
; FloatMode: 240
; IeeeMode: 1
; LDSByteSize: 0 bytes/workgroup (compile time only)
; SGPRBlocks: 0
; VGPRBlocks: 0
; NumSGPRsForWavesPerEU: 14
; NumVGPRsForWavesPerEU: 6
; NamedBarCnt: 0
; Occupancy: 16
; WaveLimiterHint : 1
; COMPUTE_PGM_RSRC2:SCRATCH_EN: 0
; COMPUTE_PGM_RSRC2:USER_SGPR: 2
; COMPUTE_PGM_RSRC2:TRAP_HANDLER: 0
; COMPUTE_PGM_RSRC2:TGID_X_EN: 1
; COMPUTE_PGM_RSRC2:TGID_Y_EN: 1
; COMPUTE_PGM_RSRC2:TGID_Z_EN: 1
; COMPUTE_PGM_RSRC2:TIDIG_COMP_CNT: 1
	.section	.text._ZL39rocblas_check_numerics_ge_matrix_kernelILi16ELi16EP19rocblas_complex_numIdEEviiT1_lllP24rocblas_check_numerics_s,"axG",@progbits,_ZL39rocblas_check_numerics_ge_matrix_kernelILi16ELi16EP19rocblas_complex_numIdEEviiT1_lllP24rocblas_check_numerics_s,comdat
	.globl	_ZL39rocblas_check_numerics_ge_matrix_kernelILi16ELi16EP19rocblas_complex_numIdEEviiT1_lllP24rocblas_check_numerics_s ; -- Begin function _ZL39rocblas_check_numerics_ge_matrix_kernelILi16ELi16EP19rocblas_complex_numIdEEviiT1_lllP24rocblas_check_numerics_s
	.p2align	8
	.type	_ZL39rocblas_check_numerics_ge_matrix_kernelILi16ELi16EP19rocblas_complex_numIdEEviiT1_lllP24rocblas_check_numerics_s,@function
_ZL39rocblas_check_numerics_ge_matrix_kernelILi16ELi16EP19rocblas_complex_numIdEEviiT1_lllP24rocblas_check_numerics_s: ; @_ZL39rocblas_check_numerics_ge_matrix_kernelILi16ELi16EP19rocblas_complex_numIdEEviiT1_lllP24rocblas_check_numerics_s
; %bb.0:
	s_clause 0x1
	s_load_b32 s4, s[0:1], 0x3c
	s_load_b64 s[2:3], s[0:1], 0x0
	s_bfe_u32 s6, ttmp6, 0x40010
	s_bfe_u32 s9, ttmp6, 0x4000c
	s_and_b32 s5, ttmp7, 0xffff
	s_add_co_i32 s6, s6, 1
	s_add_co_i32 s9, s9, 1
	s_bfe_u32 s7, ttmp6, 0x40004
	s_and_b32 s8, ttmp6, 15
	s_mul_i32 s6, s5, s6
	s_mul_i32 s9, ttmp9, s9
	s_getreg_b32 s12, hwreg(HW_REG_IB_STS2, 6, 4)
	v_and_b32_e32 v1, 0x3ff, v0
	v_bfe_u32 v2, v0, 10, 10
	s_add_co_i32 s7, s7, s6
	s_add_co_i32 s8, s8, s9
	s_wait_kmcnt 0x0
	s_lshr_b32 s6, s4, 16
	s_and_b32 s4, s4, 0xffff
	s_cmp_eq_u32 s12, 0
	s_cselect_b32 s8, ttmp9, s8
	s_cselect_b32 s5, s5, s7
	v_mad_u32 v0, s8, s4, v1
	v_mad_u32 v2, s5, s6, v2
	s_delay_alu instid0(VALU_DEP_2) | instskip(NEXT) | instid1(VALU_DEP_2)
	v_cmp_gt_i32_e32 vcc_lo, s2, v0
	v_cmp_gt_i32_e64 s2, s3, v2
	s_mov_b32 s3, 0
	s_and_b32 s2, vcc_lo, s2
	s_delay_alu instid0(SALU_CYCLE_1)
	s_and_saveexec_b32 s4, s2
	s_cbranch_execz .LBB24_16
; %bb.1:
	s_load_b256 s[4:11], s[0:1], 0x8
	v_dual_mov_b32 v4, 0 :: v_dual_ashrrev_i32 v3, 31, v2
	s_bfe_u32 s2, ttmp6, 0x40008
	s_wait_kmcnt 0x0
	s_delay_alu instid0(VALU_DEP_1)
	v_mul_u64_e32 v[2:3], s[8:9], v[2:3]
	s_load_b64 s[8:9], s[0:1], 0x28
	s_wait_xcnt 0x0
	s_bfe_u32 s0, ttmp6, 0x40014
	s_lshr_b32 s1, ttmp7, 16
	s_add_co_i32 s0, s0, 1
	s_delay_alu instid0(SALU_CYCLE_1) | instskip(NEXT) | instid1(SALU_CYCLE_1)
	s_mul_i32 s0, s1, s0
	s_add_co_i32 s2, s2, s0
	s_cmp_eq_u32 s12, 0
	s_cselect_b32 s2, s1, s2
	s_delay_alu instid0(SALU_CYCLE_1) | instskip(SKIP_2) | instid1(SALU_CYCLE_1)
	s_mul_u64 s[0:1], s[10:11], s[2:3]
	s_lshl_b64 s[2:3], s[6:7], 4
	s_lshl_b64 s[0:1], s[0:1], 4
	s_add_nc_u64 s[0:1], s[4:5], s[0:1]
	s_delay_alu instid0(SALU_CYCLE_1)
	s_add_nc_u64 s[0:1], s[0:1], s[2:3]
	s_wait_kmcnt 0x0
	global_load_u8 v5, v4, s[8:9] offset:1
	v_ashrrev_i32_e32 v1, 31, v0
	v_lshl_add_u64 v[2:3], v[2:3], 4, s[0:1]
	s_wait_loadcnt 0x0
	v_and_b32_e32 v5, 1, v5
	s_delay_alu instid0(VALU_DEP_2) | instskip(NEXT) | instid1(VALU_DEP_2)
	v_lshl_add_u64 v[0:1], v[0:1], 4, v[2:3]
	v_cmp_eq_u32_e32 vcc_lo, 1, v5
	global_load_b128 v[0:3], v[0:1], off
	s_cbranch_vccnz .LBB24_5
; %bb.2:
	s_wait_loadcnt 0x0
	v_cmp_eq_f64_e32 vcc_lo, 0, v[0:1]
	v_cmp_eq_f64_e64 s0, 0, v[2:3]
	s_and_b32 s1, vcc_lo, s0
	s_delay_alu instid0(SALU_CYCLE_1)
	s_and_saveexec_b32 s0, s1
	s_cbranch_execz .LBB24_4
; %bb.3:
	v_dual_mov_b32 v5, 0 :: v_dual_mov_b32 v6, 1
	global_store_b8 v5, v6, s[8:9] offset:1
.LBB24_4:
	s_wait_xcnt 0x0
	s_or_b32 exec_lo, exec_lo, s0
.LBB24_5:
	global_load_u8 v4, v4, s[8:9]
	s_wait_loadcnt 0x0
	v_and_b32_e32 v4, 1, v4
	s_delay_alu instid0(VALU_DEP_1)
	v_cmp_eq_u32_e32 vcc_lo, 1, v4
	s_cbranch_vccnz .LBB24_9
; %bb.6:
	s_mov_b32 s0, exec_lo
	v_cmpx_u_f64_e32 v[0:1], v[2:3]
	s_cbranch_execz .LBB24_8
; %bb.7:
	v_dual_mov_b32 v4, 0 :: v_dual_mov_b32 v5, 1
	global_store_b8 v4, v5, s[8:9]
.LBB24_8:
	s_wait_xcnt 0x0
	s_or_b32 exec_lo, exec_lo, s0
.LBB24_9:
	v_mov_b32_e32 v4, 0
	global_load_u8 v5, v4, s[8:9] offset:2
	s_wait_loadcnt 0x0
	v_and_b32_e32 v5, 1, v5
	s_delay_alu instid0(VALU_DEP_1)
	v_cmp_eq_u32_e32 vcc_lo, 1, v5
	s_cbranch_vccnz .LBB24_13
; %bb.10:
	v_cmp_class_f64_e64 s0, v[0:1], 0x204
	v_cmp_class_f64_e64 s1, v[2:3], 0x204
	s_or_b32 s1, s0, s1
	s_wait_xcnt 0x0
	s_and_saveexec_b32 s0, s1
	s_cbranch_execz .LBB24_12
; %bb.11:
	v_dual_mov_b32 v5, 0 :: v_dual_mov_b32 v6, 1
	global_store_b8 v5, v6, s[8:9] offset:2
.LBB24_12:
	s_wait_xcnt 0x0
	s_or_b32 exec_lo, exec_lo, s0
.LBB24_13:
	global_load_u8 v4, v4, s[8:9] offset:3
	s_wait_loadcnt 0x0
	v_and_b32_e32 v4, 1, v4
	s_delay_alu instid0(VALU_DEP_1)
	v_cmp_eq_u32_e32 vcc_lo, 1, v4
	s_cbranch_vccnz .LBB24_16
; %bb.14:
	v_cmp_gt_f64_e32 vcc_lo, 0, v[0:1]
	v_xor_b32_e32 v4, 0x80000000, v1
	v_xor_b32_e32 v5, 0x80000000, v3
	s_delay_alu instid0(VALU_DEP_2) | instskip(SKIP_1) | instid1(VALU_DEP_3)
	v_cndmask_b32_e32 v1, v1, v4, vcc_lo
	v_cmp_gt_f64_e32 vcc_lo, 0, v[2:3]
	v_cndmask_b32_e32 v3, v3, v5, vcc_lo
	s_delay_alu instid0(VALU_DEP_3) | instskip(SKIP_1) | instid1(VALU_DEP_3)
	v_cmp_le_f64_e32 vcc_lo, 1, v[0:1]
	v_cmp_gt_f64_e64 s0, 0x100000, v[0:1]
	v_cmp_le_f64_e64 s1, 1, v[2:3]
	v_cmp_gt_f64_e64 s2, 0x100000, v[2:3]
	s_and_b32 s0, vcc_lo, s0
	s_and_b32 s1, s1, s2
	s_delay_alu instid0(SALU_CYCLE_1) | instskip(NEXT) | instid1(SALU_CYCLE_1)
	s_or_b32 s0, s0, s1
	s_and_b32 exec_lo, exec_lo, s0
	s_cbranch_execz .LBB24_16
; %bb.15:
	v_dual_mov_b32 v0, 0 :: v_dual_mov_b32 v1, 1
	global_store_b8 v0, v1, s[8:9] offset:3
.LBB24_16:
	s_endpgm
	.section	.rodata,"a",@progbits
	.p2align	6, 0x0
	.amdhsa_kernel _ZL39rocblas_check_numerics_ge_matrix_kernelILi16ELi16EP19rocblas_complex_numIdEEviiT1_lllP24rocblas_check_numerics_s
		.amdhsa_group_segment_fixed_size 0
		.amdhsa_private_segment_fixed_size 0
		.amdhsa_kernarg_size 304
		.amdhsa_user_sgpr_count 2
		.amdhsa_user_sgpr_dispatch_ptr 0
		.amdhsa_user_sgpr_queue_ptr 0
		.amdhsa_user_sgpr_kernarg_segment_ptr 1
		.amdhsa_user_sgpr_dispatch_id 0
		.amdhsa_user_sgpr_kernarg_preload_length 0
		.amdhsa_user_sgpr_kernarg_preload_offset 0
		.amdhsa_user_sgpr_private_segment_size 0
		.amdhsa_wavefront_size32 1
		.amdhsa_uses_dynamic_stack 0
		.amdhsa_enable_private_segment 0
		.amdhsa_system_sgpr_workgroup_id_x 1
		.amdhsa_system_sgpr_workgroup_id_y 1
		.amdhsa_system_sgpr_workgroup_id_z 1
		.amdhsa_system_sgpr_workgroup_info 0
		.amdhsa_system_vgpr_workitem_id 1
		.amdhsa_next_free_vgpr 7
		.amdhsa_next_free_sgpr 13
		.amdhsa_named_barrier_count 0
		.amdhsa_reserve_vcc 1
		.amdhsa_float_round_mode_32 0
		.amdhsa_float_round_mode_16_64 0
		.amdhsa_float_denorm_mode_32 3
		.amdhsa_float_denorm_mode_16_64 3
		.amdhsa_fp16_overflow 0
		.amdhsa_memory_ordered 1
		.amdhsa_forward_progress 1
		.amdhsa_inst_pref_size 6
		.amdhsa_round_robin_scheduling 0
		.amdhsa_exception_fp_ieee_invalid_op 0
		.amdhsa_exception_fp_denorm_src 0
		.amdhsa_exception_fp_ieee_div_zero 0
		.amdhsa_exception_fp_ieee_overflow 0
		.amdhsa_exception_fp_ieee_underflow 0
		.amdhsa_exception_fp_ieee_inexact 0
		.amdhsa_exception_int_div_zero 0
	.end_amdhsa_kernel
	.section	.text._ZL39rocblas_check_numerics_ge_matrix_kernelILi16ELi16EP19rocblas_complex_numIdEEviiT1_lllP24rocblas_check_numerics_s,"axG",@progbits,_ZL39rocblas_check_numerics_ge_matrix_kernelILi16ELi16EP19rocblas_complex_numIdEEviiT1_lllP24rocblas_check_numerics_s,comdat
.Lfunc_end24:
	.size	_ZL39rocblas_check_numerics_ge_matrix_kernelILi16ELi16EP19rocblas_complex_numIdEEviiT1_lllP24rocblas_check_numerics_s, .Lfunc_end24-_ZL39rocblas_check_numerics_ge_matrix_kernelILi16ELi16EP19rocblas_complex_numIdEEviiT1_lllP24rocblas_check_numerics_s
                                        ; -- End function
	.set _ZL39rocblas_check_numerics_ge_matrix_kernelILi16ELi16EP19rocblas_complex_numIdEEviiT1_lllP24rocblas_check_numerics_s.num_vgpr, 7
	.set _ZL39rocblas_check_numerics_ge_matrix_kernelILi16ELi16EP19rocblas_complex_numIdEEviiT1_lllP24rocblas_check_numerics_s.num_agpr, 0
	.set _ZL39rocblas_check_numerics_ge_matrix_kernelILi16ELi16EP19rocblas_complex_numIdEEviiT1_lllP24rocblas_check_numerics_s.numbered_sgpr, 13
	.set _ZL39rocblas_check_numerics_ge_matrix_kernelILi16ELi16EP19rocblas_complex_numIdEEviiT1_lllP24rocblas_check_numerics_s.num_named_barrier, 0
	.set _ZL39rocblas_check_numerics_ge_matrix_kernelILi16ELi16EP19rocblas_complex_numIdEEviiT1_lllP24rocblas_check_numerics_s.private_seg_size, 0
	.set _ZL39rocblas_check_numerics_ge_matrix_kernelILi16ELi16EP19rocblas_complex_numIdEEviiT1_lllP24rocblas_check_numerics_s.uses_vcc, 1
	.set _ZL39rocblas_check_numerics_ge_matrix_kernelILi16ELi16EP19rocblas_complex_numIdEEviiT1_lllP24rocblas_check_numerics_s.uses_flat_scratch, 0
	.set _ZL39rocblas_check_numerics_ge_matrix_kernelILi16ELi16EP19rocblas_complex_numIdEEviiT1_lllP24rocblas_check_numerics_s.has_dyn_sized_stack, 0
	.set _ZL39rocblas_check_numerics_ge_matrix_kernelILi16ELi16EP19rocblas_complex_numIdEEviiT1_lllP24rocblas_check_numerics_s.has_recursion, 0
	.set _ZL39rocblas_check_numerics_ge_matrix_kernelILi16ELi16EP19rocblas_complex_numIdEEviiT1_lllP24rocblas_check_numerics_s.has_indirect_call, 0
	.section	.AMDGPU.csdata,"",@progbits
; Kernel info:
; codeLenInByte = 752
; TotalNumSgprs: 15
; NumVgprs: 7
; ScratchSize: 0
; MemoryBound: 0
; FloatMode: 240
; IeeeMode: 1
; LDSByteSize: 0 bytes/workgroup (compile time only)
; SGPRBlocks: 0
; VGPRBlocks: 0
; NumSGPRsForWavesPerEU: 15
; NumVGPRsForWavesPerEU: 7
; NamedBarCnt: 0
; Occupancy: 16
; WaveLimiterHint : 0
; COMPUTE_PGM_RSRC2:SCRATCH_EN: 0
; COMPUTE_PGM_RSRC2:USER_SGPR: 2
; COMPUTE_PGM_RSRC2:TRAP_HANDLER: 0
; COMPUTE_PGM_RSRC2:TGID_X_EN: 1
; COMPUTE_PGM_RSRC2:TGID_Y_EN: 1
; COMPUTE_PGM_RSRC2:TGID_Z_EN: 1
; COMPUTE_PGM_RSRC2:TIDIG_COMP_CNT: 1
	.section	.text._ZL49rocblas_check_numerics_sym_herm_tri_matrix_kernelILi16ELi16EP19rocblas_complex_numIdEEvbiT1_lllP24rocblas_check_numerics_s,"axG",@progbits,_ZL49rocblas_check_numerics_sym_herm_tri_matrix_kernelILi16ELi16EP19rocblas_complex_numIdEEvbiT1_lllP24rocblas_check_numerics_s,comdat
	.globl	_ZL49rocblas_check_numerics_sym_herm_tri_matrix_kernelILi16ELi16EP19rocblas_complex_numIdEEvbiT1_lllP24rocblas_check_numerics_s ; -- Begin function _ZL49rocblas_check_numerics_sym_herm_tri_matrix_kernelILi16ELi16EP19rocblas_complex_numIdEEvbiT1_lllP24rocblas_check_numerics_s
	.p2align	8
	.type	_ZL49rocblas_check_numerics_sym_herm_tri_matrix_kernelILi16ELi16EP19rocblas_complex_numIdEEvbiT1_lllP24rocblas_check_numerics_s,@function
_ZL49rocblas_check_numerics_sym_herm_tri_matrix_kernelILi16ELi16EP19rocblas_complex_numIdEEvbiT1_lllP24rocblas_check_numerics_s: ; @_ZL49rocblas_check_numerics_sym_herm_tri_matrix_kernelILi16ELi16EP19rocblas_complex_numIdEEvbiT1_lllP24rocblas_check_numerics_s
; %bb.0:
	s_clause 0x1
	s_load_b64 s[2:3], s[0:1], 0x0
	s_load_b32 s4, s[0:1], 0x3c
	s_bfe_u32 s6, ttmp6, 0x4000c
	s_bfe_u32 s8, ttmp6, 0x40010
	s_and_b32 s7, ttmp7, 0xffff
	s_add_co_i32 s6, s6, 1
	s_add_co_i32 s8, s8, 1
	s_and_b32 s5, ttmp6, 15
	s_bfe_u32 s9, ttmp6, 0x40004
	s_mul_i32 s6, ttmp9, s6
	s_mul_i32 s8, s7, s8
	s_getreg_b32 s12, hwreg(HW_REG_IB_STS2, 6, 4)
	v_and_b32_e32 v1, 0x3ff, v0
	v_bfe_u32 v2, v0, 10, 10
	s_add_co_i32 s5, s5, s6
	s_add_co_i32 s9, s9, s8
	s_wait_kmcnt 0x0
	s_and_b32 s2, s2, 1
	s_lshr_b32 s6, s4, 16
	s_and_b32 s4, s4, 0xffff
	s_cmp_eq_u32 s12, 0
	s_cselect_b32 s5, ttmp9, s5
	s_cselect_b32 s7, s7, s9
	v_mad_u32 v0, s5, s4, v1
	v_mad_u32 v2, s7, s6, v2
	s_mov_b32 s4, 0
	s_cmp_eq_u32 s2, 0
	s_mov_b32 s2, -1
	s_cbranch_scc1 .LBB25_4
; %bb.1:
	s_and_not1_b32 vcc_lo, exec_lo, s2
	s_cbranch_vccz .LBB25_5
.LBB25_2:
	s_and_saveexec_b32 s2, s4
	s_cbranch_execnz .LBB25_6
.LBB25_3:
	s_endpgm
.LBB25_4:
	s_delay_alu instid0(VALU_DEP_2) | instskip(NEXT) | instid1(VALU_DEP_2)
	v_cmp_gt_i32_e32 vcc_lo, s3, v0
	v_cmp_le_i32_e64 s2, v2, v0
	s_and_b32 s4, vcc_lo, s2
	s_delay_alu instid0(SALU_CYCLE_1)
	s_and_b32 s4, s4, exec_lo
	s_cbranch_execnz .LBB25_2
.LBB25_5:
	s_delay_alu instid0(VALU_DEP_1) | instskip(NEXT) | instid1(VALU_DEP_3)
	v_cmp_gt_i32_e32 vcc_lo, s3, v2
	v_cmp_le_i32_e64 s2, v0, v2
	s_and_not1_b32 s3, s4, exec_lo
	s_and_b32 s2, vcc_lo, s2
	s_delay_alu instid0(SALU_CYCLE_1) | instskip(NEXT) | instid1(SALU_CYCLE_1)
	s_and_b32 s2, s2, exec_lo
	s_or_b32 s4, s3, s2
	s_delay_alu instid0(SALU_CYCLE_1)
	s_and_saveexec_b32 s2, s4
	s_cbranch_execz .LBB25_3
.LBB25_6:
	s_load_b256 s[4:11], s[0:1], 0x8
	s_delay_alu instid0(VALU_DEP_1) | instskip(SKIP_2) | instid1(VALU_DEP_1)
	v_dual_mov_b32 v4, 0 :: v_dual_ashrrev_i32 v3, 31, v2
	s_lshr_b32 s2, ttmp7, 16
	s_wait_kmcnt 0x0
	v_mul_u64_e32 v[2:3], s[8:9], v[2:3]
	s_load_b64 s[8:9], s[0:1], 0x28
	s_wait_xcnt 0x0
	s_bfe_u32 s0, ttmp6, 0x40014
	s_bfe_u32 s1, ttmp6, 0x40008
	s_add_co_i32 s0, s0, 1
	s_delay_alu instid0(SALU_CYCLE_1) | instskip(NEXT) | instid1(SALU_CYCLE_1)
	s_mul_i32 s0, s2, s0
	s_add_co_i32 s0, s1, s0
	s_cmp_eq_u32 s12, 0
	s_mov_b32 s1, 0
	s_cselect_b32 s0, s2, s0
	s_lshl_b64 s[2:3], s[6:7], 4
	s_mul_u64 s[0:1], s[10:11], s[0:1]
	s_delay_alu instid0(SALU_CYCLE_1) | instskip(NEXT) | instid1(SALU_CYCLE_1)
	s_lshl_b64 s[0:1], s[0:1], 4
	s_add_nc_u64 s[0:1], s[4:5], s[0:1]
	s_delay_alu instid0(SALU_CYCLE_1)
	s_add_nc_u64 s[0:1], s[0:1], s[2:3]
	s_wait_kmcnt 0x0
	global_load_u8 v5, v4, s[8:9] offset:1
	v_ashrrev_i32_e32 v1, 31, v0
	v_lshl_add_u64 v[2:3], v[2:3], 4, s[0:1]
	s_wait_loadcnt 0x0
	v_and_b32_e32 v5, 1, v5
	s_delay_alu instid0(VALU_DEP_2) | instskip(NEXT) | instid1(VALU_DEP_2)
	v_lshl_add_u64 v[0:1], v[0:1], 4, v[2:3]
	v_cmp_eq_u32_e32 vcc_lo, 1, v5
	global_load_b128 v[0:3], v[0:1], off
	s_cbranch_vccnz .LBB25_10
; %bb.7:
	s_wait_loadcnt 0x0
	v_cmp_eq_f64_e32 vcc_lo, 0, v[0:1]
	v_cmp_eq_f64_e64 s0, 0, v[2:3]
	s_and_b32 s1, vcc_lo, s0
	s_delay_alu instid0(SALU_CYCLE_1)
	s_and_saveexec_b32 s0, s1
	s_cbranch_execz .LBB25_9
; %bb.8:
	v_dual_mov_b32 v5, 0 :: v_dual_mov_b32 v6, 1
	global_store_b8 v5, v6, s[8:9] offset:1
.LBB25_9:
	s_wait_xcnt 0x0
	s_or_b32 exec_lo, exec_lo, s0
.LBB25_10:
	global_load_u8 v4, v4, s[8:9]
	s_wait_loadcnt 0x0
	v_and_b32_e32 v4, 1, v4
	s_delay_alu instid0(VALU_DEP_1)
	v_cmp_eq_u32_e32 vcc_lo, 1, v4
	s_cbranch_vccnz .LBB25_14
; %bb.11:
	s_mov_b32 s0, exec_lo
	v_cmpx_u_f64_e32 v[0:1], v[2:3]
	s_cbranch_execz .LBB25_13
; %bb.12:
	v_dual_mov_b32 v4, 0 :: v_dual_mov_b32 v5, 1
	global_store_b8 v4, v5, s[8:9]
.LBB25_13:
	s_wait_xcnt 0x0
	s_or_b32 exec_lo, exec_lo, s0
.LBB25_14:
	v_mov_b32_e32 v4, 0
	global_load_u8 v5, v4, s[8:9] offset:2
	s_wait_loadcnt 0x0
	v_and_b32_e32 v5, 1, v5
	s_delay_alu instid0(VALU_DEP_1)
	v_cmp_eq_u32_e32 vcc_lo, 1, v5
	s_cbranch_vccnz .LBB25_18
; %bb.15:
	v_cmp_class_f64_e64 s0, v[0:1], 0x204
	v_cmp_class_f64_e64 s1, v[2:3], 0x204
	s_or_b32 s1, s0, s1
	s_wait_xcnt 0x0
	s_and_saveexec_b32 s0, s1
	s_cbranch_execz .LBB25_17
; %bb.16:
	v_dual_mov_b32 v5, 0 :: v_dual_mov_b32 v6, 1
	global_store_b8 v5, v6, s[8:9] offset:2
.LBB25_17:
	s_wait_xcnt 0x0
	s_or_b32 exec_lo, exec_lo, s0
.LBB25_18:
	global_load_u8 v4, v4, s[8:9] offset:3
	s_wait_loadcnt 0x0
	v_and_b32_e32 v4, 1, v4
	s_delay_alu instid0(VALU_DEP_1)
	v_cmp_eq_u32_e32 vcc_lo, 1, v4
	s_cbranch_vccnz .LBB25_3
; %bb.19:
	v_cmp_gt_f64_e32 vcc_lo, 0, v[0:1]
	v_xor_b32_e32 v4, 0x80000000, v1
	v_xor_b32_e32 v5, 0x80000000, v3
	s_delay_alu instid0(VALU_DEP_2) | instskip(SKIP_1) | instid1(VALU_DEP_3)
	v_cndmask_b32_e32 v1, v1, v4, vcc_lo
	v_cmp_gt_f64_e32 vcc_lo, 0, v[2:3]
	v_cndmask_b32_e32 v3, v3, v5, vcc_lo
	s_delay_alu instid0(VALU_DEP_3) | instskip(SKIP_1) | instid1(VALU_DEP_3)
	v_cmp_le_f64_e32 vcc_lo, 1, v[0:1]
	v_cmp_gt_f64_e64 s0, 0x100000, v[0:1]
	v_cmp_le_f64_e64 s1, 1, v[2:3]
	v_cmp_gt_f64_e64 s2, 0x100000, v[2:3]
	s_and_b32 s0, vcc_lo, s0
	s_and_b32 s1, s1, s2
	s_delay_alu instid0(SALU_CYCLE_1) | instskip(NEXT) | instid1(SALU_CYCLE_1)
	s_or_b32 s0, s0, s1
	s_and_b32 exec_lo, exec_lo, s0
	s_cbranch_execz .LBB25_3
; %bb.20:
	v_dual_mov_b32 v0, 0 :: v_dual_mov_b32 v1, 1
	global_store_b8 v0, v1, s[8:9] offset:3
	s_endpgm
	.section	.rodata,"a",@progbits
	.p2align	6, 0x0
	.amdhsa_kernel _ZL49rocblas_check_numerics_sym_herm_tri_matrix_kernelILi16ELi16EP19rocblas_complex_numIdEEvbiT1_lllP24rocblas_check_numerics_s
		.amdhsa_group_segment_fixed_size 0
		.amdhsa_private_segment_fixed_size 0
		.amdhsa_kernarg_size 304
		.amdhsa_user_sgpr_count 2
		.amdhsa_user_sgpr_dispatch_ptr 0
		.amdhsa_user_sgpr_queue_ptr 0
		.amdhsa_user_sgpr_kernarg_segment_ptr 1
		.amdhsa_user_sgpr_dispatch_id 0
		.amdhsa_user_sgpr_kernarg_preload_length 0
		.amdhsa_user_sgpr_kernarg_preload_offset 0
		.amdhsa_user_sgpr_private_segment_size 0
		.amdhsa_wavefront_size32 1
		.amdhsa_uses_dynamic_stack 0
		.amdhsa_enable_private_segment 0
		.amdhsa_system_sgpr_workgroup_id_x 1
		.amdhsa_system_sgpr_workgroup_id_y 1
		.amdhsa_system_sgpr_workgroup_id_z 1
		.amdhsa_system_sgpr_workgroup_info 0
		.amdhsa_system_vgpr_workitem_id 1
		.amdhsa_next_free_vgpr 7
		.amdhsa_next_free_sgpr 13
		.amdhsa_named_barrier_count 0
		.amdhsa_reserve_vcc 1
		.amdhsa_float_round_mode_32 0
		.amdhsa_float_round_mode_16_64 0
		.amdhsa_float_denorm_mode_32 3
		.amdhsa_float_denorm_mode_16_64 3
		.amdhsa_fp16_overflow 0
		.amdhsa_memory_ordered 1
		.amdhsa_forward_progress 1
		.amdhsa_inst_pref_size 7
		.amdhsa_round_robin_scheduling 0
		.amdhsa_exception_fp_ieee_invalid_op 0
		.amdhsa_exception_fp_denorm_src 0
		.amdhsa_exception_fp_ieee_div_zero 0
		.amdhsa_exception_fp_ieee_overflow 0
		.amdhsa_exception_fp_ieee_underflow 0
		.amdhsa_exception_fp_ieee_inexact 0
		.amdhsa_exception_int_div_zero 0
	.end_amdhsa_kernel
	.section	.text._ZL49rocblas_check_numerics_sym_herm_tri_matrix_kernelILi16ELi16EP19rocblas_complex_numIdEEvbiT1_lllP24rocblas_check_numerics_s,"axG",@progbits,_ZL49rocblas_check_numerics_sym_herm_tri_matrix_kernelILi16ELi16EP19rocblas_complex_numIdEEvbiT1_lllP24rocblas_check_numerics_s,comdat
.Lfunc_end25:
	.size	_ZL49rocblas_check_numerics_sym_herm_tri_matrix_kernelILi16ELi16EP19rocblas_complex_numIdEEvbiT1_lllP24rocblas_check_numerics_s, .Lfunc_end25-_ZL49rocblas_check_numerics_sym_herm_tri_matrix_kernelILi16ELi16EP19rocblas_complex_numIdEEvbiT1_lllP24rocblas_check_numerics_s
                                        ; -- End function
	.set _ZL49rocblas_check_numerics_sym_herm_tri_matrix_kernelILi16ELi16EP19rocblas_complex_numIdEEvbiT1_lllP24rocblas_check_numerics_s.num_vgpr, 7
	.set _ZL49rocblas_check_numerics_sym_herm_tri_matrix_kernelILi16ELi16EP19rocblas_complex_numIdEEvbiT1_lllP24rocblas_check_numerics_s.num_agpr, 0
	.set _ZL49rocblas_check_numerics_sym_herm_tri_matrix_kernelILi16ELi16EP19rocblas_complex_numIdEEvbiT1_lllP24rocblas_check_numerics_s.numbered_sgpr, 13
	.set _ZL49rocblas_check_numerics_sym_herm_tri_matrix_kernelILi16ELi16EP19rocblas_complex_numIdEEvbiT1_lllP24rocblas_check_numerics_s.num_named_barrier, 0
	.set _ZL49rocblas_check_numerics_sym_herm_tri_matrix_kernelILi16ELi16EP19rocblas_complex_numIdEEvbiT1_lllP24rocblas_check_numerics_s.private_seg_size, 0
	.set _ZL49rocblas_check_numerics_sym_herm_tri_matrix_kernelILi16ELi16EP19rocblas_complex_numIdEEvbiT1_lllP24rocblas_check_numerics_s.uses_vcc, 1
	.set _ZL49rocblas_check_numerics_sym_herm_tri_matrix_kernelILi16ELi16EP19rocblas_complex_numIdEEvbiT1_lllP24rocblas_check_numerics_s.uses_flat_scratch, 0
	.set _ZL49rocblas_check_numerics_sym_herm_tri_matrix_kernelILi16ELi16EP19rocblas_complex_numIdEEvbiT1_lllP24rocblas_check_numerics_s.has_dyn_sized_stack, 0
	.set _ZL49rocblas_check_numerics_sym_herm_tri_matrix_kernelILi16ELi16EP19rocblas_complex_numIdEEvbiT1_lllP24rocblas_check_numerics_s.has_recursion, 0
	.set _ZL49rocblas_check_numerics_sym_herm_tri_matrix_kernelILi16ELi16EP19rocblas_complex_numIdEEvbiT1_lllP24rocblas_check_numerics_s.has_indirect_call, 0
	.section	.AMDGPU.csdata,"",@progbits
; Kernel info:
; codeLenInByte = 840
; TotalNumSgprs: 15
; NumVgprs: 7
; ScratchSize: 0
; MemoryBound: 0
; FloatMode: 240
; IeeeMode: 1
; LDSByteSize: 0 bytes/workgroup (compile time only)
; SGPRBlocks: 0
; VGPRBlocks: 0
; NumSGPRsForWavesPerEU: 15
; NumVGPRsForWavesPerEU: 7
; NamedBarCnt: 0
; Occupancy: 16
; WaveLimiterHint : 0
; COMPUTE_PGM_RSRC2:SCRATCH_EN: 0
; COMPUTE_PGM_RSRC2:USER_SGPR: 2
; COMPUTE_PGM_RSRC2:TRAP_HANDLER: 0
; COMPUTE_PGM_RSRC2:TGID_X_EN: 1
; COMPUTE_PGM_RSRC2:TGID_Y_EN: 1
; COMPUTE_PGM_RSRC2:TGID_Z_EN: 1
; COMPUTE_PGM_RSRC2:TIDIG_COMP_CNT: 1
	.section	.text._ZL39rocblas_check_numerics_ge_matrix_kernelILi16ELi16EPKP19rocblas_complex_numIdEEviiT1_lllP24rocblas_check_numerics_s,"axG",@progbits,_ZL39rocblas_check_numerics_ge_matrix_kernelILi16ELi16EPKP19rocblas_complex_numIdEEviiT1_lllP24rocblas_check_numerics_s,comdat
	.globl	_ZL39rocblas_check_numerics_ge_matrix_kernelILi16ELi16EPKP19rocblas_complex_numIdEEviiT1_lllP24rocblas_check_numerics_s ; -- Begin function _ZL39rocblas_check_numerics_ge_matrix_kernelILi16ELi16EPKP19rocblas_complex_numIdEEviiT1_lllP24rocblas_check_numerics_s
	.p2align	8
	.type	_ZL39rocblas_check_numerics_ge_matrix_kernelILi16ELi16EPKP19rocblas_complex_numIdEEviiT1_lllP24rocblas_check_numerics_s,@function
_ZL39rocblas_check_numerics_ge_matrix_kernelILi16ELi16EPKP19rocblas_complex_numIdEEviiT1_lllP24rocblas_check_numerics_s: ; @_ZL39rocblas_check_numerics_ge_matrix_kernelILi16ELi16EPKP19rocblas_complex_numIdEEviiT1_lllP24rocblas_check_numerics_s
; %bb.0:
	s_clause 0x1
	s_load_b32 s2, s[0:1], 0x3c
	s_load_b64 s[4:5], s[0:1], 0x0
	s_bfe_u32 s7, ttmp6, 0x40010
	s_bfe_u32 s10, ttmp6, 0x4000c
	s_and_b32 s6, ttmp7, 0xffff
	s_add_co_i32 s7, s7, 1
	s_add_co_i32 s10, s10, 1
	s_bfe_u32 s8, ttmp6, 0x40004
	s_and_b32 s9, ttmp6, 15
	s_mul_i32 s7, s6, s7
	s_mul_i32 s10, ttmp9, s10
	s_getreg_b32 s3, hwreg(HW_REG_IB_STS2, 6, 4)
	v_and_b32_e32 v1, 0x3ff, v0
	v_bfe_u32 v2, v0, 10, 10
	s_add_co_i32 s8, s8, s7
	s_add_co_i32 s9, s9, s10
	s_wait_kmcnt 0x0
	s_lshr_b32 s7, s2, 16
	s_and_b32 s2, s2, 0xffff
	s_cmp_eq_u32 s3, 0
	s_cselect_b32 s9, ttmp9, s9
	s_cselect_b32 s6, s6, s8
	v_mad_u32 v0, s9, s2, v1
	v_mad_u32 v2, s6, s7, v2
	s_delay_alu instid0(VALU_DEP_2) | instskip(NEXT) | instid1(VALU_DEP_2)
	v_cmp_gt_i32_e32 vcc_lo, s4, v0
	v_cmp_gt_i32_e64 s2, s5, v2
	s_and_b32 s2, vcc_lo, s2
	s_delay_alu instid0(SALU_CYCLE_1)
	s_and_saveexec_b32 s4, s2
	s_cbranch_execz .LBB26_16
; %bb.1:
	s_clause 0x1
	s_load_b64 s[4:5], s[0:1], 0x18
	s_load_b128 s[8:11], s[0:1], 0x8
	v_dual_mov_b32 v4, 0 :: v_dual_ashrrev_i32 v3, 31, v2
	s_bfe_u32 s2, ttmp6, 0x40014
	s_lshr_b32 s6, ttmp7, 16
	s_add_co_i32 s2, s2, 1
	s_delay_alu instid0(SALU_CYCLE_1) | instskip(SKIP_3) | instid1(SALU_CYCLE_1)
	s_mul_i32 s2, s6, s2
	s_wait_kmcnt 0x0
	v_mul_u64_e32 v[2:3], s[4:5], v[2:3]
	s_bfe_u32 s4, ttmp6, 0x40008
	s_add_co_i32 s2, s4, s2
	s_load_b64 s[4:5], s[0:1], 0x28
	s_cmp_eq_u32 s3, 0
	s_wait_xcnt 0x0
	s_cselect_b32 s0, s6, s2
	s_lshl_b64 s[2:3], s[10:11], 4
	s_load_b64 s[0:1], s[8:9], s0 offset:0x0 scale_offset
	s_wait_kmcnt 0x0
	global_load_u8 v5, v4, s[4:5] offset:1
	v_ashrrev_i32_e32 v1, 31, v0
	s_add_nc_u64 s[0:1], s[0:1], s[2:3]
	s_delay_alu instid0(SALU_CYCLE_1) | instskip(SKIP_2) | instid1(VALU_DEP_2)
	v_lshl_add_u64 v[2:3], v[2:3], 4, s[0:1]
	s_wait_loadcnt 0x0
	v_and_b32_e32 v5, 1, v5
	v_lshl_add_u64 v[0:1], v[0:1], 4, v[2:3]
	s_delay_alu instid0(VALU_DEP_2)
	v_cmp_eq_u32_e32 vcc_lo, 1, v5
	flat_load_b128 v[0:3], v[0:1]
	s_cbranch_vccnz .LBB26_5
; %bb.2:
	s_wait_loadcnt_dscnt 0x0
	v_cmp_eq_f64_e32 vcc_lo, 0, v[0:1]
	v_cmp_eq_f64_e64 s0, 0, v[2:3]
	s_and_b32 s1, vcc_lo, s0
	s_delay_alu instid0(SALU_CYCLE_1)
	s_and_saveexec_b32 s0, s1
	s_cbranch_execz .LBB26_4
; %bb.3:
	v_dual_mov_b32 v5, 0 :: v_dual_mov_b32 v6, 1
	global_store_b8 v5, v6, s[4:5] offset:1
.LBB26_4:
	s_wait_xcnt 0x0
	s_or_b32 exec_lo, exec_lo, s0
.LBB26_5:
	global_load_u8 v4, v4, s[4:5]
	s_wait_loadcnt 0x0
	v_and_b32_e32 v4, 1, v4
	s_delay_alu instid0(VALU_DEP_1)
	v_cmp_eq_u32_e32 vcc_lo, 1, v4
	s_cbranch_vccnz .LBB26_9
; %bb.6:
	s_mov_b32 s0, exec_lo
	s_wait_dscnt 0x0
	v_cmpx_u_f64_e32 v[0:1], v[2:3]
	s_cbranch_execz .LBB26_8
; %bb.7:
	v_dual_mov_b32 v4, 0 :: v_dual_mov_b32 v5, 1
	global_store_b8 v4, v5, s[4:5]
.LBB26_8:
	s_wait_xcnt 0x0
	s_or_b32 exec_lo, exec_lo, s0
.LBB26_9:
	v_mov_b32_e32 v4, 0
	global_load_u8 v5, v4, s[4:5] offset:2
	s_wait_loadcnt 0x0
	v_and_b32_e32 v5, 1, v5
	s_delay_alu instid0(VALU_DEP_1)
	v_cmp_eq_u32_e32 vcc_lo, 1, v5
	s_cbranch_vccnz .LBB26_13
; %bb.10:
	s_wait_dscnt 0x0
	v_cmp_class_f64_e64 s0, v[0:1], 0x204
	v_cmp_class_f64_e64 s1, v[2:3], 0x204
	s_or_b32 s1, s0, s1
	s_wait_xcnt 0x0
	s_and_saveexec_b32 s0, s1
	s_cbranch_execz .LBB26_12
; %bb.11:
	v_dual_mov_b32 v5, 0 :: v_dual_mov_b32 v6, 1
	global_store_b8 v5, v6, s[4:5] offset:2
.LBB26_12:
	s_wait_xcnt 0x0
	s_or_b32 exec_lo, exec_lo, s0
.LBB26_13:
	global_load_u8 v4, v4, s[4:5] offset:3
	s_wait_loadcnt 0x0
	v_and_b32_e32 v4, 1, v4
	s_delay_alu instid0(VALU_DEP_1)
	v_cmp_eq_u32_e32 vcc_lo, 1, v4
	s_cbranch_vccnz .LBB26_16
; %bb.14:
	s_wait_dscnt 0x0
	v_cmp_gt_f64_e32 vcc_lo, 0, v[0:1]
	v_xor_b32_e32 v4, 0x80000000, v1
	v_xor_b32_e32 v5, 0x80000000, v3
	s_delay_alu instid0(VALU_DEP_2) | instskip(SKIP_1) | instid1(VALU_DEP_3)
	v_cndmask_b32_e32 v1, v1, v4, vcc_lo
	v_cmp_gt_f64_e32 vcc_lo, 0, v[2:3]
	v_cndmask_b32_e32 v3, v3, v5, vcc_lo
	s_delay_alu instid0(VALU_DEP_3) | instskip(SKIP_1) | instid1(VALU_DEP_3)
	v_cmp_le_f64_e32 vcc_lo, 1, v[0:1]
	v_cmp_gt_f64_e64 s0, 0x100000, v[0:1]
	v_cmp_le_f64_e64 s1, 1, v[2:3]
	v_cmp_gt_f64_e64 s2, 0x100000, v[2:3]
	s_and_b32 s0, vcc_lo, s0
	s_and_b32 s1, s1, s2
	s_delay_alu instid0(SALU_CYCLE_1) | instskip(NEXT) | instid1(SALU_CYCLE_1)
	s_or_b32 s0, s0, s1
	s_and_b32 exec_lo, exec_lo, s0
	s_cbranch_execz .LBB26_16
; %bb.15:
	v_dual_mov_b32 v0, 0 :: v_dual_mov_b32 v1, 1
	global_store_b8 v0, v1, s[4:5] offset:3
.LBB26_16:
	s_endpgm
	.section	.rodata,"a",@progbits
	.p2align	6, 0x0
	.amdhsa_kernel _ZL39rocblas_check_numerics_ge_matrix_kernelILi16ELi16EPKP19rocblas_complex_numIdEEviiT1_lllP24rocblas_check_numerics_s
		.amdhsa_group_segment_fixed_size 0
		.amdhsa_private_segment_fixed_size 0
		.amdhsa_kernarg_size 304
		.amdhsa_user_sgpr_count 2
		.amdhsa_user_sgpr_dispatch_ptr 0
		.amdhsa_user_sgpr_queue_ptr 0
		.amdhsa_user_sgpr_kernarg_segment_ptr 1
		.amdhsa_user_sgpr_dispatch_id 0
		.amdhsa_user_sgpr_kernarg_preload_length 0
		.amdhsa_user_sgpr_kernarg_preload_offset 0
		.amdhsa_user_sgpr_private_segment_size 0
		.amdhsa_wavefront_size32 1
		.amdhsa_uses_dynamic_stack 0
		.amdhsa_enable_private_segment 0
		.amdhsa_system_sgpr_workgroup_id_x 1
		.amdhsa_system_sgpr_workgroup_id_y 1
		.amdhsa_system_sgpr_workgroup_id_z 1
		.amdhsa_system_sgpr_workgroup_info 0
		.amdhsa_system_vgpr_workitem_id 1
		.amdhsa_next_free_vgpr 7
		.amdhsa_next_free_sgpr 12
		.amdhsa_named_barrier_count 0
		.amdhsa_reserve_vcc 1
		.amdhsa_float_round_mode_32 0
		.amdhsa_float_round_mode_16_64 0
		.amdhsa_float_denorm_mode_32 3
		.amdhsa_float_denorm_mode_16_64 3
		.amdhsa_fp16_overflow 0
		.amdhsa_memory_ordered 1
		.amdhsa_forward_progress 1
		.amdhsa_inst_pref_size 6
		.amdhsa_round_robin_scheduling 0
		.amdhsa_exception_fp_ieee_invalid_op 0
		.amdhsa_exception_fp_denorm_src 0
		.amdhsa_exception_fp_ieee_div_zero 0
		.amdhsa_exception_fp_ieee_overflow 0
		.amdhsa_exception_fp_ieee_underflow 0
		.amdhsa_exception_fp_ieee_inexact 0
		.amdhsa_exception_int_div_zero 0
	.end_amdhsa_kernel
	.section	.text._ZL39rocblas_check_numerics_ge_matrix_kernelILi16ELi16EPKP19rocblas_complex_numIdEEviiT1_lllP24rocblas_check_numerics_s,"axG",@progbits,_ZL39rocblas_check_numerics_ge_matrix_kernelILi16ELi16EPKP19rocblas_complex_numIdEEviiT1_lllP24rocblas_check_numerics_s,comdat
.Lfunc_end26:
	.size	_ZL39rocblas_check_numerics_ge_matrix_kernelILi16ELi16EPKP19rocblas_complex_numIdEEviiT1_lllP24rocblas_check_numerics_s, .Lfunc_end26-_ZL39rocblas_check_numerics_ge_matrix_kernelILi16ELi16EPKP19rocblas_complex_numIdEEviiT1_lllP24rocblas_check_numerics_s
                                        ; -- End function
	.set _ZL39rocblas_check_numerics_ge_matrix_kernelILi16ELi16EPKP19rocblas_complex_numIdEEviiT1_lllP24rocblas_check_numerics_s.num_vgpr, 7
	.set _ZL39rocblas_check_numerics_ge_matrix_kernelILi16ELi16EPKP19rocblas_complex_numIdEEviiT1_lllP24rocblas_check_numerics_s.num_agpr, 0
	.set _ZL39rocblas_check_numerics_ge_matrix_kernelILi16ELi16EPKP19rocblas_complex_numIdEEviiT1_lllP24rocblas_check_numerics_s.numbered_sgpr, 12
	.set _ZL39rocblas_check_numerics_ge_matrix_kernelILi16ELi16EPKP19rocblas_complex_numIdEEviiT1_lllP24rocblas_check_numerics_s.num_named_barrier, 0
	.set _ZL39rocblas_check_numerics_ge_matrix_kernelILi16ELi16EPKP19rocblas_complex_numIdEEviiT1_lllP24rocblas_check_numerics_s.private_seg_size, 0
	.set _ZL39rocblas_check_numerics_ge_matrix_kernelILi16ELi16EPKP19rocblas_complex_numIdEEviiT1_lllP24rocblas_check_numerics_s.uses_vcc, 1
	.set _ZL39rocblas_check_numerics_ge_matrix_kernelILi16ELi16EPKP19rocblas_complex_numIdEEviiT1_lllP24rocblas_check_numerics_s.uses_flat_scratch, 0
	.set _ZL39rocblas_check_numerics_ge_matrix_kernelILi16ELi16EPKP19rocblas_complex_numIdEEviiT1_lllP24rocblas_check_numerics_s.has_dyn_sized_stack, 0
	.set _ZL39rocblas_check_numerics_ge_matrix_kernelILi16ELi16EPKP19rocblas_complex_numIdEEviiT1_lllP24rocblas_check_numerics_s.has_recursion, 0
	.set _ZL39rocblas_check_numerics_ge_matrix_kernelILi16ELi16EPKP19rocblas_complex_numIdEEviiT1_lllP24rocblas_check_numerics_s.has_indirect_call, 0
	.section	.AMDGPU.csdata,"",@progbits
; Kernel info:
; codeLenInByte = 760
; TotalNumSgprs: 14
; NumVgprs: 7
; ScratchSize: 0
; MemoryBound: 0
; FloatMode: 240
; IeeeMode: 1
; LDSByteSize: 0 bytes/workgroup (compile time only)
; SGPRBlocks: 0
; VGPRBlocks: 0
; NumSGPRsForWavesPerEU: 14
; NumVGPRsForWavesPerEU: 7
; NamedBarCnt: 0
; Occupancy: 16
; WaveLimiterHint : 1
; COMPUTE_PGM_RSRC2:SCRATCH_EN: 0
; COMPUTE_PGM_RSRC2:USER_SGPR: 2
; COMPUTE_PGM_RSRC2:TRAP_HANDLER: 0
; COMPUTE_PGM_RSRC2:TGID_X_EN: 1
; COMPUTE_PGM_RSRC2:TGID_Y_EN: 1
; COMPUTE_PGM_RSRC2:TGID_Z_EN: 1
; COMPUTE_PGM_RSRC2:TIDIG_COMP_CNT: 1
	.section	.text._ZL49rocblas_check_numerics_sym_herm_tri_matrix_kernelILi16ELi16EPKP19rocblas_complex_numIdEEvbiT1_lllP24rocblas_check_numerics_s,"axG",@progbits,_ZL49rocblas_check_numerics_sym_herm_tri_matrix_kernelILi16ELi16EPKP19rocblas_complex_numIdEEvbiT1_lllP24rocblas_check_numerics_s,comdat
	.globl	_ZL49rocblas_check_numerics_sym_herm_tri_matrix_kernelILi16ELi16EPKP19rocblas_complex_numIdEEvbiT1_lllP24rocblas_check_numerics_s ; -- Begin function _ZL49rocblas_check_numerics_sym_herm_tri_matrix_kernelILi16ELi16EPKP19rocblas_complex_numIdEEvbiT1_lllP24rocblas_check_numerics_s
	.p2align	8
	.type	_ZL49rocblas_check_numerics_sym_herm_tri_matrix_kernelILi16ELi16EPKP19rocblas_complex_numIdEEvbiT1_lllP24rocblas_check_numerics_s,@function
_ZL49rocblas_check_numerics_sym_herm_tri_matrix_kernelILi16ELi16EPKP19rocblas_complex_numIdEEvbiT1_lllP24rocblas_check_numerics_s: ; @_ZL49rocblas_check_numerics_sym_herm_tri_matrix_kernelILi16ELi16EPKP19rocblas_complex_numIdEEvbiT1_lllP24rocblas_check_numerics_s
; %bb.0:
	s_clause 0x1
	s_load_b64 s[2:3], s[0:1], 0x0
	s_load_b32 s5, s[0:1], 0x3c
	s_bfe_u32 s7, ttmp6, 0x4000c
	s_bfe_u32 s9, ttmp6, 0x40010
	s_and_b32 s8, ttmp7, 0xffff
	s_add_co_i32 s7, s7, 1
	s_add_co_i32 s9, s9, 1
	s_and_b32 s6, ttmp6, 15
	s_bfe_u32 s10, ttmp6, 0x40004
	s_mul_i32 s7, ttmp9, s7
	s_mul_i32 s9, s8, s9
	s_getreg_b32 s4, hwreg(HW_REG_IB_STS2, 6, 4)
	v_and_b32_e32 v1, 0x3ff, v0
	v_bfe_u32 v2, v0, 10, 10
	s_add_co_i32 s6, s6, s7
	s_add_co_i32 s10, s10, s9
	s_wait_kmcnt 0x0
	s_and_b32 s2, s2, 1
	s_lshr_b32 s7, s5, 16
	s_and_b32 s5, s5, 0xffff
	s_cmp_eq_u32 s4, 0
	s_cselect_b32 s6, ttmp9, s6
	s_cselect_b32 s8, s8, s10
	v_mad_u32 v0, s6, s5, v1
	v_mad_u32 v2, s8, s7, v2
	s_mov_b32 s5, 0
	s_cmp_eq_u32 s2, 0
	s_mov_b32 s2, -1
	s_cbranch_scc1 .LBB27_4
; %bb.1:
	s_and_not1_b32 vcc_lo, exec_lo, s2
	s_cbranch_vccz .LBB27_5
.LBB27_2:
	s_and_saveexec_b32 s2, s5
	s_cbranch_execnz .LBB27_6
.LBB27_3:
	s_endpgm
.LBB27_4:
	s_delay_alu instid0(VALU_DEP_2) | instskip(NEXT) | instid1(VALU_DEP_2)
	v_cmp_gt_i32_e32 vcc_lo, s3, v0
	v_cmp_le_i32_e64 s2, v2, v0
	s_and_b32 s5, vcc_lo, s2
	s_delay_alu instid0(SALU_CYCLE_1)
	s_and_b32 s5, s5, exec_lo
	s_cbranch_execnz .LBB27_2
.LBB27_5:
	s_delay_alu instid0(VALU_DEP_1) | instskip(NEXT) | instid1(VALU_DEP_3)
	v_cmp_gt_i32_e32 vcc_lo, s3, v2
	v_cmp_le_i32_e64 s2, v0, v2
	s_and_not1_b32 s3, s5, exec_lo
	s_and_b32 s2, vcc_lo, s2
	s_delay_alu instid0(SALU_CYCLE_1) | instskip(NEXT) | instid1(SALU_CYCLE_1)
	s_and_b32 s2, s2, exec_lo
	s_or_b32 s5, s3, s2
	s_delay_alu instid0(SALU_CYCLE_1)
	s_and_saveexec_b32 s2, s5
	s_cbranch_execz .LBB27_3
.LBB27_6:
	s_clause 0x1
	s_load_b64 s[2:3], s[0:1], 0x18
	s_load_b128 s[8:11], s[0:1], 0x8
	v_dual_mov_b32 v4, 0 :: v_dual_ashrrev_i32 v3, 31, v2
	s_bfe_u32 s5, ttmp6, 0x40014
	s_lshr_b32 s6, ttmp7, 16
	s_add_co_i32 s5, s5, 1
	s_wait_kmcnt 0x0
	v_mul_u64_e32 v[2:3], s[2:3], v[2:3]
	s_mul_i32 s2, s6, s5
	s_bfe_u32 s3, ttmp6, 0x40008
	s_delay_alu instid0(SALU_CYCLE_1)
	s_add_co_i32 s3, s3, s2
	s_cmp_eq_u32 s4, 0
	s_load_b64 s[4:5], s[0:1], 0x28
	s_wait_xcnt 0x0
	s_cselect_b32 s0, s6, s3
	s_lshl_b64 s[2:3], s[10:11], 4
	s_load_b64 s[0:1], s[8:9], s0 offset:0x0 scale_offset
	s_wait_kmcnt 0x0
	global_load_u8 v5, v4, s[4:5] offset:1
	v_ashrrev_i32_e32 v1, 31, v0
	s_add_nc_u64 s[0:1], s[0:1], s[2:3]
	s_delay_alu instid0(SALU_CYCLE_1) | instskip(SKIP_2) | instid1(VALU_DEP_2)
	v_lshl_add_u64 v[2:3], v[2:3], 4, s[0:1]
	s_wait_loadcnt 0x0
	v_and_b32_e32 v5, 1, v5
	v_lshl_add_u64 v[0:1], v[0:1], 4, v[2:3]
	s_delay_alu instid0(VALU_DEP_2)
	v_cmp_eq_u32_e32 vcc_lo, 1, v5
	flat_load_b128 v[0:3], v[0:1]
	s_cbranch_vccnz .LBB27_10
; %bb.7:
	s_wait_loadcnt_dscnt 0x0
	v_cmp_eq_f64_e32 vcc_lo, 0, v[0:1]
	v_cmp_eq_f64_e64 s0, 0, v[2:3]
	s_and_b32 s1, vcc_lo, s0
	s_delay_alu instid0(SALU_CYCLE_1)
	s_and_saveexec_b32 s0, s1
	s_cbranch_execz .LBB27_9
; %bb.8:
	v_dual_mov_b32 v5, 0 :: v_dual_mov_b32 v6, 1
	global_store_b8 v5, v6, s[4:5] offset:1
.LBB27_9:
	s_wait_xcnt 0x0
	s_or_b32 exec_lo, exec_lo, s0
.LBB27_10:
	global_load_u8 v4, v4, s[4:5]
	s_wait_loadcnt 0x0
	v_and_b32_e32 v4, 1, v4
	s_delay_alu instid0(VALU_DEP_1)
	v_cmp_eq_u32_e32 vcc_lo, 1, v4
	s_cbranch_vccnz .LBB27_14
; %bb.11:
	s_mov_b32 s0, exec_lo
	s_wait_dscnt 0x0
	v_cmpx_u_f64_e32 v[0:1], v[2:3]
	s_cbranch_execz .LBB27_13
; %bb.12:
	v_dual_mov_b32 v4, 0 :: v_dual_mov_b32 v5, 1
	global_store_b8 v4, v5, s[4:5]
.LBB27_13:
	s_wait_xcnt 0x0
	s_or_b32 exec_lo, exec_lo, s0
.LBB27_14:
	v_mov_b32_e32 v4, 0
	global_load_u8 v5, v4, s[4:5] offset:2
	s_wait_loadcnt 0x0
	v_and_b32_e32 v5, 1, v5
	s_delay_alu instid0(VALU_DEP_1)
	v_cmp_eq_u32_e32 vcc_lo, 1, v5
	s_cbranch_vccnz .LBB27_18
; %bb.15:
	s_wait_dscnt 0x0
	v_cmp_class_f64_e64 s0, v[0:1], 0x204
	v_cmp_class_f64_e64 s1, v[2:3], 0x204
	s_or_b32 s1, s0, s1
	s_wait_xcnt 0x0
	s_and_saveexec_b32 s0, s1
	s_cbranch_execz .LBB27_17
; %bb.16:
	v_dual_mov_b32 v5, 0 :: v_dual_mov_b32 v6, 1
	global_store_b8 v5, v6, s[4:5] offset:2
.LBB27_17:
	s_wait_xcnt 0x0
	s_or_b32 exec_lo, exec_lo, s0
.LBB27_18:
	global_load_u8 v4, v4, s[4:5] offset:3
	s_wait_loadcnt 0x0
	v_and_b32_e32 v4, 1, v4
	s_delay_alu instid0(VALU_DEP_1)
	v_cmp_eq_u32_e32 vcc_lo, 1, v4
	s_cbranch_vccnz .LBB27_3
; %bb.19:
	s_wait_dscnt 0x0
	v_cmp_gt_f64_e32 vcc_lo, 0, v[0:1]
	v_xor_b32_e32 v4, 0x80000000, v1
	v_xor_b32_e32 v5, 0x80000000, v3
	s_delay_alu instid0(VALU_DEP_2) | instskip(SKIP_1) | instid1(VALU_DEP_3)
	v_cndmask_b32_e32 v1, v1, v4, vcc_lo
	v_cmp_gt_f64_e32 vcc_lo, 0, v[2:3]
	v_cndmask_b32_e32 v3, v3, v5, vcc_lo
	s_delay_alu instid0(VALU_DEP_3) | instskip(SKIP_1) | instid1(VALU_DEP_3)
	v_cmp_le_f64_e32 vcc_lo, 1, v[0:1]
	v_cmp_gt_f64_e64 s0, 0x100000, v[0:1]
	v_cmp_le_f64_e64 s1, 1, v[2:3]
	v_cmp_gt_f64_e64 s2, 0x100000, v[2:3]
	s_and_b32 s0, vcc_lo, s0
	s_and_b32 s1, s1, s2
	s_delay_alu instid0(SALU_CYCLE_1) | instskip(NEXT) | instid1(SALU_CYCLE_1)
	s_or_b32 s0, s0, s1
	s_and_b32 exec_lo, exec_lo, s0
	s_cbranch_execz .LBB27_3
; %bb.20:
	v_dual_mov_b32 v0, 0 :: v_dual_mov_b32 v1, 1
	global_store_b8 v0, v1, s[4:5] offset:3
	s_endpgm
	.section	.rodata,"a",@progbits
	.p2align	6, 0x0
	.amdhsa_kernel _ZL49rocblas_check_numerics_sym_herm_tri_matrix_kernelILi16ELi16EPKP19rocblas_complex_numIdEEvbiT1_lllP24rocblas_check_numerics_s
		.amdhsa_group_segment_fixed_size 0
		.amdhsa_private_segment_fixed_size 0
		.amdhsa_kernarg_size 304
		.amdhsa_user_sgpr_count 2
		.amdhsa_user_sgpr_dispatch_ptr 0
		.amdhsa_user_sgpr_queue_ptr 0
		.amdhsa_user_sgpr_kernarg_segment_ptr 1
		.amdhsa_user_sgpr_dispatch_id 0
		.amdhsa_user_sgpr_kernarg_preload_length 0
		.amdhsa_user_sgpr_kernarg_preload_offset 0
		.amdhsa_user_sgpr_private_segment_size 0
		.amdhsa_wavefront_size32 1
		.amdhsa_uses_dynamic_stack 0
		.amdhsa_enable_private_segment 0
		.amdhsa_system_sgpr_workgroup_id_x 1
		.amdhsa_system_sgpr_workgroup_id_y 1
		.amdhsa_system_sgpr_workgroup_id_z 1
		.amdhsa_system_sgpr_workgroup_info 0
		.amdhsa_system_vgpr_workitem_id 1
		.amdhsa_next_free_vgpr 7
		.amdhsa_next_free_sgpr 12
		.amdhsa_named_barrier_count 0
		.amdhsa_reserve_vcc 1
		.amdhsa_float_round_mode_32 0
		.amdhsa_float_round_mode_16_64 0
		.amdhsa_float_denorm_mode_32 3
		.amdhsa_float_denorm_mode_16_64 3
		.amdhsa_fp16_overflow 0
		.amdhsa_memory_ordered 1
		.amdhsa_forward_progress 1
		.amdhsa_inst_pref_size 7
		.amdhsa_round_robin_scheduling 0
		.amdhsa_exception_fp_ieee_invalid_op 0
		.amdhsa_exception_fp_denorm_src 0
		.amdhsa_exception_fp_ieee_div_zero 0
		.amdhsa_exception_fp_ieee_overflow 0
		.amdhsa_exception_fp_ieee_underflow 0
		.amdhsa_exception_fp_ieee_inexact 0
		.amdhsa_exception_int_div_zero 0
	.end_amdhsa_kernel
	.section	.text._ZL49rocblas_check_numerics_sym_herm_tri_matrix_kernelILi16ELi16EPKP19rocblas_complex_numIdEEvbiT1_lllP24rocblas_check_numerics_s,"axG",@progbits,_ZL49rocblas_check_numerics_sym_herm_tri_matrix_kernelILi16ELi16EPKP19rocblas_complex_numIdEEvbiT1_lllP24rocblas_check_numerics_s,comdat
.Lfunc_end27:
	.size	_ZL49rocblas_check_numerics_sym_herm_tri_matrix_kernelILi16ELi16EPKP19rocblas_complex_numIdEEvbiT1_lllP24rocblas_check_numerics_s, .Lfunc_end27-_ZL49rocblas_check_numerics_sym_herm_tri_matrix_kernelILi16ELi16EPKP19rocblas_complex_numIdEEvbiT1_lllP24rocblas_check_numerics_s
                                        ; -- End function
	.set _ZL49rocblas_check_numerics_sym_herm_tri_matrix_kernelILi16ELi16EPKP19rocblas_complex_numIdEEvbiT1_lllP24rocblas_check_numerics_s.num_vgpr, 7
	.set _ZL49rocblas_check_numerics_sym_herm_tri_matrix_kernelILi16ELi16EPKP19rocblas_complex_numIdEEvbiT1_lllP24rocblas_check_numerics_s.num_agpr, 0
	.set _ZL49rocblas_check_numerics_sym_herm_tri_matrix_kernelILi16ELi16EPKP19rocblas_complex_numIdEEvbiT1_lllP24rocblas_check_numerics_s.numbered_sgpr, 12
	.set _ZL49rocblas_check_numerics_sym_herm_tri_matrix_kernelILi16ELi16EPKP19rocblas_complex_numIdEEvbiT1_lllP24rocblas_check_numerics_s.num_named_barrier, 0
	.set _ZL49rocblas_check_numerics_sym_herm_tri_matrix_kernelILi16ELi16EPKP19rocblas_complex_numIdEEvbiT1_lllP24rocblas_check_numerics_s.private_seg_size, 0
	.set _ZL49rocblas_check_numerics_sym_herm_tri_matrix_kernelILi16ELi16EPKP19rocblas_complex_numIdEEvbiT1_lllP24rocblas_check_numerics_s.uses_vcc, 1
	.set _ZL49rocblas_check_numerics_sym_herm_tri_matrix_kernelILi16ELi16EPKP19rocblas_complex_numIdEEvbiT1_lllP24rocblas_check_numerics_s.uses_flat_scratch, 0
	.set _ZL49rocblas_check_numerics_sym_herm_tri_matrix_kernelILi16ELi16EPKP19rocblas_complex_numIdEEvbiT1_lllP24rocblas_check_numerics_s.has_dyn_sized_stack, 0
	.set _ZL49rocblas_check_numerics_sym_herm_tri_matrix_kernelILi16ELi16EPKP19rocblas_complex_numIdEEvbiT1_lllP24rocblas_check_numerics_s.has_recursion, 0
	.set _ZL49rocblas_check_numerics_sym_herm_tri_matrix_kernelILi16ELi16EPKP19rocblas_complex_numIdEEvbiT1_lllP24rocblas_check_numerics_s.has_indirect_call, 0
	.section	.AMDGPU.csdata,"",@progbits
; Kernel info:
; codeLenInByte = 848
; TotalNumSgprs: 14
; NumVgprs: 7
; ScratchSize: 0
; MemoryBound: 0
; FloatMode: 240
; IeeeMode: 1
; LDSByteSize: 0 bytes/workgroup (compile time only)
; SGPRBlocks: 0
; VGPRBlocks: 0
; NumSGPRsForWavesPerEU: 14
; NumVGPRsForWavesPerEU: 7
; NamedBarCnt: 0
; Occupancy: 16
; WaveLimiterHint : 1
; COMPUTE_PGM_RSRC2:SCRATCH_EN: 0
; COMPUTE_PGM_RSRC2:USER_SGPR: 2
; COMPUTE_PGM_RSRC2:TRAP_HANDLER: 0
; COMPUTE_PGM_RSRC2:TGID_X_EN: 1
; COMPUTE_PGM_RSRC2:TGID_Y_EN: 1
; COMPUTE_PGM_RSRC2:TGID_Z_EN: 1
; COMPUTE_PGM_RSRC2:TIDIG_COMP_CNT: 1
	.section	.text._ZL39rocblas_check_numerics_ge_matrix_kernelILi16ELi16EPK19rocblas_complex_numIdEEviiT1_lllP24rocblas_check_numerics_s,"axG",@progbits,_ZL39rocblas_check_numerics_ge_matrix_kernelILi16ELi16EPK19rocblas_complex_numIdEEviiT1_lllP24rocblas_check_numerics_s,comdat
	.globl	_ZL39rocblas_check_numerics_ge_matrix_kernelILi16ELi16EPK19rocblas_complex_numIdEEviiT1_lllP24rocblas_check_numerics_s ; -- Begin function _ZL39rocblas_check_numerics_ge_matrix_kernelILi16ELi16EPK19rocblas_complex_numIdEEviiT1_lllP24rocblas_check_numerics_s
	.p2align	8
	.type	_ZL39rocblas_check_numerics_ge_matrix_kernelILi16ELi16EPK19rocblas_complex_numIdEEviiT1_lllP24rocblas_check_numerics_s,@function
_ZL39rocblas_check_numerics_ge_matrix_kernelILi16ELi16EPK19rocblas_complex_numIdEEviiT1_lllP24rocblas_check_numerics_s: ; @_ZL39rocblas_check_numerics_ge_matrix_kernelILi16ELi16EPK19rocblas_complex_numIdEEviiT1_lllP24rocblas_check_numerics_s
; %bb.0:
	s_clause 0x1
	s_load_b32 s4, s[0:1], 0x3c
	s_load_b64 s[2:3], s[0:1], 0x0
	s_bfe_u32 s6, ttmp6, 0x40010
	s_bfe_u32 s9, ttmp6, 0x4000c
	s_and_b32 s5, ttmp7, 0xffff
	s_add_co_i32 s6, s6, 1
	s_add_co_i32 s9, s9, 1
	s_bfe_u32 s7, ttmp6, 0x40004
	s_and_b32 s8, ttmp6, 15
	s_mul_i32 s6, s5, s6
	s_mul_i32 s9, ttmp9, s9
	s_getreg_b32 s12, hwreg(HW_REG_IB_STS2, 6, 4)
	v_and_b32_e32 v1, 0x3ff, v0
	v_bfe_u32 v2, v0, 10, 10
	s_add_co_i32 s7, s7, s6
	s_add_co_i32 s8, s8, s9
	s_wait_kmcnt 0x0
	s_lshr_b32 s6, s4, 16
	s_and_b32 s4, s4, 0xffff
	s_cmp_eq_u32 s12, 0
	s_cselect_b32 s8, ttmp9, s8
	s_cselect_b32 s5, s5, s7
	v_mad_u32 v0, s8, s4, v1
	v_mad_u32 v2, s5, s6, v2
	s_delay_alu instid0(VALU_DEP_2) | instskip(NEXT) | instid1(VALU_DEP_2)
	v_cmp_gt_i32_e32 vcc_lo, s2, v0
	v_cmp_gt_i32_e64 s2, s3, v2
	s_mov_b32 s3, 0
	s_and_b32 s2, vcc_lo, s2
	s_delay_alu instid0(SALU_CYCLE_1)
	s_and_saveexec_b32 s4, s2
	s_cbranch_execz .LBB28_16
; %bb.1:
	s_load_b256 s[4:11], s[0:1], 0x8
	v_dual_mov_b32 v4, 0 :: v_dual_ashrrev_i32 v3, 31, v2
	s_bfe_u32 s2, ttmp6, 0x40008
	s_wait_kmcnt 0x0
	s_delay_alu instid0(VALU_DEP_1)
	v_mul_u64_e32 v[2:3], s[8:9], v[2:3]
	s_load_b64 s[8:9], s[0:1], 0x28
	s_wait_xcnt 0x0
	s_bfe_u32 s0, ttmp6, 0x40014
	s_lshr_b32 s1, ttmp7, 16
	s_add_co_i32 s0, s0, 1
	s_delay_alu instid0(SALU_CYCLE_1) | instskip(NEXT) | instid1(SALU_CYCLE_1)
	s_mul_i32 s0, s1, s0
	s_add_co_i32 s2, s2, s0
	s_cmp_eq_u32 s12, 0
	s_cselect_b32 s2, s1, s2
	s_delay_alu instid0(SALU_CYCLE_1) | instskip(SKIP_2) | instid1(SALU_CYCLE_1)
	s_mul_u64 s[0:1], s[10:11], s[2:3]
	s_lshl_b64 s[2:3], s[6:7], 4
	s_lshl_b64 s[0:1], s[0:1], 4
	s_add_nc_u64 s[0:1], s[4:5], s[0:1]
	s_delay_alu instid0(SALU_CYCLE_1)
	s_add_nc_u64 s[0:1], s[0:1], s[2:3]
	s_wait_kmcnt 0x0
	global_load_u8 v5, v4, s[8:9] offset:1
	v_ashrrev_i32_e32 v1, 31, v0
	v_lshl_add_u64 v[2:3], v[2:3], 4, s[0:1]
	s_wait_loadcnt 0x0
	v_and_b32_e32 v5, 1, v5
	s_delay_alu instid0(VALU_DEP_2) | instskip(NEXT) | instid1(VALU_DEP_2)
	v_lshl_add_u64 v[0:1], v[0:1], 4, v[2:3]
	v_cmp_eq_u32_e32 vcc_lo, 1, v5
	global_load_b128 v[0:3], v[0:1], off
	s_cbranch_vccnz .LBB28_5
; %bb.2:
	s_wait_loadcnt 0x0
	v_cmp_eq_f64_e32 vcc_lo, 0, v[0:1]
	v_cmp_eq_f64_e64 s0, 0, v[2:3]
	s_and_b32 s1, vcc_lo, s0
	s_delay_alu instid0(SALU_CYCLE_1)
	s_and_saveexec_b32 s0, s1
	s_cbranch_execz .LBB28_4
; %bb.3:
	v_dual_mov_b32 v5, 0 :: v_dual_mov_b32 v6, 1
	global_store_b8 v5, v6, s[8:9] offset:1
.LBB28_4:
	s_wait_xcnt 0x0
	s_or_b32 exec_lo, exec_lo, s0
.LBB28_5:
	global_load_u8 v4, v4, s[8:9]
	s_wait_loadcnt 0x0
	v_and_b32_e32 v4, 1, v4
	s_delay_alu instid0(VALU_DEP_1)
	v_cmp_eq_u32_e32 vcc_lo, 1, v4
	s_cbranch_vccnz .LBB28_9
; %bb.6:
	s_mov_b32 s0, exec_lo
	v_cmpx_u_f64_e32 v[0:1], v[2:3]
	s_cbranch_execz .LBB28_8
; %bb.7:
	v_dual_mov_b32 v4, 0 :: v_dual_mov_b32 v5, 1
	global_store_b8 v4, v5, s[8:9]
.LBB28_8:
	s_wait_xcnt 0x0
	s_or_b32 exec_lo, exec_lo, s0
.LBB28_9:
	v_mov_b32_e32 v4, 0
	global_load_u8 v5, v4, s[8:9] offset:2
	s_wait_loadcnt 0x0
	v_and_b32_e32 v5, 1, v5
	s_delay_alu instid0(VALU_DEP_1)
	v_cmp_eq_u32_e32 vcc_lo, 1, v5
	s_cbranch_vccnz .LBB28_13
; %bb.10:
	v_cmp_class_f64_e64 s0, v[0:1], 0x204
	v_cmp_class_f64_e64 s1, v[2:3], 0x204
	s_or_b32 s1, s0, s1
	s_wait_xcnt 0x0
	s_and_saveexec_b32 s0, s1
	s_cbranch_execz .LBB28_12
; %bb.11:
	v_dual_mov_b32 v5, 0 :: v_dual_mov_b32 v6, 1
	global_store_b8 v5, v6, s[8:9] offset:2
.LBB28_12:
	s_wait_xcnt 0x0
	s_or_b32 exec_lo, exec_lo, s0
.LBB28_13:
	global_load_u8 v4, v4, s[8:9] offset:3
	s_wait_loadcnt 0x0
	v_and_b32_e32 v4, 1, v4
	s_delay_alu instid0(VALU_DEP_1)
	v_cmp_eq_u32_e32 vcc_lo, 1, v4
	s_cbranch_vccnz .LBB28_16
; %bb.14:
	v_cmp_gt_f64_e32 vcc_lo, 0, v[0:1]
	v_xor_b32_e32 v4, 0x80000000, v1
	v_xor_b32_e32 v5, 0x80000000, v3
	s_delay_alu instid0(VALU_DEP_2) | instskip(SKIP_1) | instid1(VALU_DEP_3)
	v_cndmask_b32_e32 v1, v1, v4, vcc_lo
	v_cmp_gt_f64_e32 vcc_lo, 0, v[2:3]
	v_cndmask_b32_e32 v3, v3, v5, vcc_lo
	s_delay_alu instid0(VALU_DEP_3) | instskip(SKIP_1) | instid1(VALU_DEP_3)
	v_cmp_le_f64_e32 vcc_lo, 1, v[0:1]
	v_cmp_gt_f64_e64 s0, 0x100000, v[0:1]
	v_cmp_le_f64_e64 s1, 1, v[2:3]
	v_cmp_gt_f64_e64 s2, 0x100000, v[2:3]
	s_and_b32 s0, vcc_lo, s0
	s_and_b32 s1, s1, s2
	s_delay_alu instid0(SALU_CYCLE_1) | instskip(NEXT) | instid1(SALU_CYCLE_1)
	s_or_b32 s0, s0, s1
	s_and_b32 exec_lo, exec_lo, s0
	s_cbranch_execz .LBB28_16
; %bb.15:
	v_dual_mov_b32 v0, 0 :: v_dual_mov_b32 v1, 1
	global_store_b8 v0, v1, s[8:9] offset:3
.LBB28_16:
	s_endpgm
	.section	.rodata,"a",@progbits
	.p2align	6, 0x0
	.amdhsa_kernel _ZL39rocblas_check_numerics_ge_matrix_kernelILi16ELi16EPK19rocblas_complex_numIdEEviiT1_lllP24rocblas_check_numerics_s
		.amdhsa_group_segment_fixed_size 0
		.amdhsa_private_segment_fixed_size 0
		.amdhsa_kernarg_size 304
		.amdhsa_user_sgpr_count 2
		.amdhsa_user_sgpr_dispatch_ptr 0
		.amdhsa_user_sgpr_queue_ptr 0
		.amdhsa_user_sgpr_kernarg_segment_ptr 1
		.amdhsa_user_sgpr_dispatch_id 0
		.amdhsa_user_sgpr_kernarg_preload_length 0
		.amdhsa_user_sgpr_kernarg_preload_offset 0
		.amdhsa_user_sgpr_private_segment_size 0
		.amdhsa_wavefront_size32 1
		.amdhsa_uses_dynamic_stack 0
		.amdhsa_enable_private_segment 0
		.amdhsa_system_sgpr_workgroup_id_x 1
		.amdhsa_system_sgpr_workgroup_id_y 1
		.amdhsa_system_sgpr_workgroup_id_z 1
		.amdhsa_system_sgpr_workgroup_info 0
		.amdhsa_system_vgpr_workitem_id 1
		.amdhsa_next_free_vgpr 7
		.amdhsa_next_free_sgpr 13
		.amdhsa_named_barrier_count 0
		.amdhsa_reserve_vcc 1
		.amdhsa_float_round_mode_32 0
		.amdhsa_float_round_mode_16_64 0
		.amdhsa_float_denorm_mode_32 3
		.amdhsa_float_denorm_mode_16_64 3
		.amdhsa_fp16_overflow 0
		.amdhsa_memory_ordered 1
		.amdhsa_forward_progress 1
		.amdhsa_inst_pref_size 6
		.amdhsa_round_robin_scheduling 0
		.amdhsa_exception_fp_ieee_invalid_op 0
		.amdhsa_exception_fp_denorm_src 0
		.amdhsa_exception_fp_ieee_div_zero 0
		.amdhsa_exception_fp_ieee_overflow 0
		.amdhsa_exception_fp_ieee_underflow 0
		.amdhsa_exception_fp_ieee_inexact 0
		.amdhsa_exception_int_div_zero 0
	.end_amdhsa_kernel
	.section	.text._ZL39rocblas_check_numerics_ge_matrix_kernelILi16ELi16EPK19rocblas_complex_numIdEEviiT1_lllP24rocblas_check_numerics_s,"axG",@progbits,_ZL39rocblas_check_numerics_ge_matrix_kernelILi16ELi16EPK19rocblas_complex_numIdEEviiT1_lllP24rocblas_check_numerics_s,comdat
.Lfunc_end28:
	.size	_ZL39rocblas_check_numerics_ge_matrix_kernelILi16ELi16EPK19rocblas_complex_numIdEEviiT1_lllP24rocblas_check_numerics_s, .Lfunc_end28-_ZL39rocblas_check_numerics_ge_matrix_kernelILi16ELi16EPK19rocblas_complex_numIdEEviiT1_lllP24rocblas_check_numerics_s
                                        ; -- End function
	.set _ZL39rocblas_check_numerics_ge_matrix_kernelILi16ELi16EPK19rocblas_complex_numIdEEviiT1_lllP24rocblas_check_numerics_s.num_vgpr, 7
	.set _ZL39rocblas_check_numerics_ge_matrix_kernelILi16ELi16EPK19rocblas_complex_numIdEEviiT1_lllP24rocblas_check_numerics_s.num_agpr, 0
	.set _ZL39rocblas_check_numerics_ge_matrix_kernelILi16ELi16EPK19rocblas_complex_numIdEEviiT1_lllP24rocblas_check_numerics_s.numbered_sgpr, 13
	.set _ZL39rocblas_check_numerics_ge_matrix_kernelILi16ELi16EPK19rocblas_complex_numIdEEviiT1_lllP24rocblas_check_numerics_s.num_named_barrier, 0
	.set _ZL39rocblas_check_numerics_ge_matrix_kernelILi16ELi16EPK19rocblas_complex_numIdEEviiT1_lllP24rocblas_check_numerics_s.private_seg_size, 0
	.set _ZL39rocblas_check_numerics_ge_matrix_kernelILi16ELi16EPK19rocblas_complex_numIdEEviiT1_lllP24rocblas_check_numerics_s.uses_vcc, 1
	.set _ZL39rocblas_check_numerics_ge_matrix_kernelILi16ELi16EPK19rocblas_complex_numIdEEviiT1_lllP24rocblas_check_numerics_s.uses_flat_scratch, 0
	.set _ZL39rocblas_check_numerics_ge_matrix_kernelILi16ELi16EPK19rocblas_complex_numIdEEviiT1_lllP24rocblas_check_numerics_s.has_dyn_sized_stack, 0
	.set _ZL39rocblas_check_numerics_ge_matrix_kernelILi16ELi16EPK19rocblas_complex_numIdEEviiT1_lllP24rocblas_check_numerics_s.has_recursion, 0
	.set _ZL39rocblas_check_numerics_ge_matrix_kernelILi16ELi16EPK19rocblas_complex_numIdEEviiT1_lllP24rocblas_check_numerics_s.has_indirect_call, 0
	.section	.AMDGPU.csdata,"",@progbits
; Kernel info:
; codeLenInByte = 752
; TotalNumSgprs: 15
; NumVgprs: 7
; ScratchSize: 0
; MemoryBound: 0
; FloatMode: 240
; IeeeMode: 1
; LDSByteSize: 0 bytes/workgroup (compile time only)
; SGPRBlocks: 0
; VGPRBlocks: 0
; NumSGPRsForWavesPerEU: 15
; NumVGPRsForWavesPerEU: 7
; NamedBarCnt: 0
; Occupancy: 16
; WaveLimiterHint : 0
; COMPUTE_PGM_RSRC2:SCRATCH_EN: 0
; COMPUTE_PGM_RSRC2:USER_SGPR: 2
; COMPUTE_PGM_RSRC2:TRAP_HANDLER: 0
; COMPUTE_PGM_RSRC2:TGID_X_EN: 1
; COMPUTE_PGM_RSRC2:TGID_Y_EN: 1
; COMPUTE_PGM_RSRC2:TGID_Z_EN: 1
; COMPUTE_PGM_RSRC2:TIDIG_COMP_CNT: 1
	.section	.text._ZL49rocblas_check_numerics_sym_herm_tri_matrix_kernelILi16ELi16EPK19rocblas_complex_numIdEEvbiT1_lllP24rocblas_check_numerics_s,"axG",@progbits,_ZL49rocblas_check_numerics_sym_herm_tri_matrix_kernelILi16ELi16EPK19rocblas_complex_numIdEEvbiT1_lllP24rocblas_check_numerics_s,comdat
	.globl	_ZL49rocblas_check_numerics_sym_herm_tri_matrix_kernelILi16ELi16EPK19rocblas_complex_numIdEEvbiT1_lllP24rocblas_check_numerics_s ; -- Begin function _ZL49rocblas_check_numerics_sym_herm_tri_matrix_kernelILi16ELi16EPK19rocblas_complex_numIdEEvbiT1_lllP24rocblas_check_numerics_s
	.p2align	8
	.type	_ZL49rocblas_check_numerics_sym_herm_tri_matrix_kernelILi16ELi16EPK19rocblas_complex_numIdEEvbiT1_lllP24rocblas_check_numerics_s,@function
_ZL49rocblas_check_numerics_sym_herm_tri_matrix_kernelILi16ELi16EPK19rocblas_complex_numIdEEvbiT1_lllP24rocblas_check_numerics_s: ; @_ZL49rocblas_check_numerics_sym_herm_tri_matrix_kernelILi16ELi16EPK19rocblas_complex_numIdEEvbiT1_lllP24rocblas_check_numerics_s
; %bb.0:
	s_clause 0x1
	s_load_b64 s[2:3], s[0:1], 0x0
	s_load_b32 s4, s[0:1], 0x3c
	s_bfe_u32 s6, ttmp6, 0x4000c
	s_bfe_u32 s8, ttmp6, 0x40010
	s_and_b32 s7, ttmp7, 0xffff
	s_add_co_i32 s6, s6, 1
	s_add_co_i32 s8, s8, 1
	s_and_b32 s5, ttmp6, 15
	s_bfe_u32 s9, ttmp6, 0x40004
	s_mul_i32 s6, ttmp9, s6
	s_mul_i32 s8, s7, s8
	s_getreg_b32 s12, hwreg(HW_REG_IB_STS2, 6, 4)
	v_and_b32_e32 v1, 0x3ff, v0
	v_bfe_u32 v2, v0, 10, 10
	s_add_co_i32 s5, s5, s6
	s_add_co_i32 s9, s9, s8
	s_wait_kmcnt 0x0
	s_and_b32 s2, s2, 1
	s_lshr_b32 s6, s4, 16
	s_and_b32 s4, s4, 0xffff
	s_cmp_eq_u32 s12, 0
	s_cselect_b32 s5, ttmp9, s5
	s_cselect_b32 s7, s7, s9
	v_mad_u32 v0, s5, s4, v1
	v_mad_u32 v2, s7, s6, v2
	s_mov_b32 s4, 0
	s_cmp_eq_u32 s2, 0
	s_mov_b32 s2, -1
	s_cbranch_scc1 .LBB29_4
; %bb.1:
	s_and_not1_b32 vcc_lo, exec_lo, s2
	s_cbranch_vccz .LBB29_5
.LBB29_2:
	s_and_saveexec_b32 s2, s4
	s_cbranch_execnz .LBB29_6
.LBB29_3:
	s_endpgm
.LBB29_4:
	s_delay_alu instid0(VALU_DEP_2) | instskip(NEXT) | instid1(VALU_DEP_2)
	v_cmp_gt_i32_e32 vcc_lo, s3, v0
	v_cmp_le_i32_e64 s2, v2, v0
	s_and_b32 s4, vcc_lo, s2
	s_delay_alu instid0(SALU_CYCLE_1)
	s_and_b32 s4, s4, exec_lo
	s_cbranch_execnz .LBB29_2
.LBB29_5:
	s_delay_alu instid0(VALU_DEP_1) | instskip(NEXT) | instid1(VALU_DEP_3)
	v_cmp_gt_i32_e32 vcc_lo, s3, v2
	v_cmp_le_i32_e64 s2, v0, v2
	s_and_not1_b32 s3, s4, exec_lo
	s_and_b32 s2, vcc_lo, s2
	s_delay_alu instid0(SALU_CYCLE_1) | instskip(NEXT) | instid1(SALU_CYCLE_1)
	s_and_b32 s2, s2, exec_lo
	s_or_b32 s4, s3, s2
	s_delay_alu instid0(SALU_CYCLE_1)
	s_and_saveexec_b32 s2, s4
	s_cbranch_execz .LBB29_3
.LBB29_6:
	s_load_b256 s[4:11], s[0:1], 0x8
	s_delay_alu instid0(VALU_DEP_1) | instskip(SKIP_2) | instid1(VALU_DEP_1)
	v_dual_mov_b32 v4, 0 :: v_dual_ashrrev_i32 v3, 31, v2
	s_lshr_b32 s2, ttmp7, 16
	s_wait_kmcnt 0x0
	v_mul_u64_e32 v[2:3], s[8:9], v[2:3]
	s_load_b64 s[8:9], s[0:1], 0x28
	s_wait_xcnt 0x0
	s_bfe_u32 s0, ttmp6, 0x40014
	s_bfe_u32 s1, ttmp6, 0x40008
	s_add_co_i32 s0, s0, 1
	s_delay_alu instid0(SALU_CYCLE_1) | instskip(NEXT) | instid1(SALU_CYCLE_1)
	s_mul_i32 s0, s2, s0
	s_add_co_i32 s0, s1, s0
	s_cmp_eq_u32 s12, 0
	s_mov_b32 s1, 0
	s_cselect_b32 s0, s2, s0
	s_lshl_b64 s[2:3], s[6:7], 4
	s_mul_u64 s[0:1], s[10:11], s[0:1]
	s_delay_alu instid0(SALU_CYCLE_1) | instskip(NEXT) | instid1(SALU_CYCLE_1)
	s_lshl_b64 s[0:1], s[0:1], 4
	s_add_nc_u64 s[0:1], s[4:5], s[0:1]
	s_delay_alu instid0(SALU_CYCLE_1)
	s_add_nc_u64 s[0:1], s[0:1], s[2:3]
	s_wait_kmcnt 0x0
	global_load_u8 v5, v4, s[8:9] offset:1
	v_ashrrev_i32_e32 v1, 31, v0
	v_lshl_add_u64 v[2:3], v[2:3], 4, s[0:1]
	s_wait_loadcnt 0x0
	v_and_b32_e32 v5, 1, v5
	s_delay_alu instid0(VALU_DEP_2) | instskip(NEXT) | instid1(VALU_DEP_2)
	v_lshl_add_u64 v[0:1], v[0:1], 4, v[2:3]
	v_cmp_eq_u32_e32 vcc_lo, 1, v5
	global_load_b128 v[0:3], v[0:1], off
	s_cbranch_vccnz .LBB29_10
; %bb.7:
	s_wait_loadcnt 0x0
	v_cmp_eq_f64_e32 vcc_lo, 0, v[0:1]
	v_cmp_eq_f64_e64 s0, 0, v[2:3]
	s_and_b32 s1, vcc_lo, s0
	s_delay_alu instid0(SALU_CYCLE_1)
	s_and_saveexec_b32 s0, s1
	s_cbranch_execz .LBB29_9
; %bb.8:
	v_dual_mov_b32 v5, 0 :: v_dual_mov_b32 v6, 1
	global_store_b8 v5, v6, s[8:9] offset:1
.LBB29_9:
	s_wait_xcnt 0x0
	s_or_b32 exec_lo, exec_lo, s0
.LBB29_10:
	global_load_u8 v4, v4, s[8:9]
	s_wait_loadcnt 0x0
	v_and_b32_e32 v4, 1, v4
	s_delay_alu instid0(VALU_DEP_1)
	v_cmp_eq_u32_e32 vcc_lo, 1, v4
	s_cbranch_vccnz .LBB29_14
; %bb.11:
	s_mov_b32 s0, exec_lo
	v_cmpx_u_f64_e32 v[0:1], v[2:3]
	s_cbranch_execz .LBB29_13
; %bb.12:
	v_dual_mov_b32 v4, 0 :: v_dual_mov_b32 v5, 1
	global_store_b8 v4, v5, s[8:9]
.LBB29_13:
	s_wait_xcnt 0x0
	s_or_b32 exec_lo, exec_lo, s0
.LBB29_14:
	v_mov_b32_e32 v4, 0
	global_load_u8 v5, v4, s[8:9] offset:2
	s_wait_loadcnt 0x0
	v_and_b32_e32 v5, 1, v5
	s_delay_alu instid0(VALU_DEP_1)
	v_cmp_eq_u32_e32 vcc_lo, 1, v5
	s_cbranch_vccnz .LBB29_18
; %bb.15:
	v_cmp_class_f64_e64 s0, v[0:1], 0x204
	v_cmp_class_f64_e64 s1, v[2:3], 0x204
	s_or_b32 s1, s0, s1
	s_wait_xcnt 0x0
	s_and_saveexec_b32 s0, s1
	s_cbranch_execz .LBB29_17
; %bb.16:
	v_dual_mov_b32 v5, 0 :: v_dual_mov_b32 v6, 1
	global_store_b8 v5, v6, s[8:9] offset:2
.LBB29_17:
	s_wait_xcnt 0x0
	s_or_b32 exec_lo, exec_lo, s0
.LBB29_18:
	global_load_u8 v4, v4, s[8:9] offset:3
	s_wait_loadcnt 0x0
	v_and_b32_e32 v4, 1, v4
	s_delay_alu instid0(VALU_DEP_1)
	v_cmp_eq_u32_e32 vcc_lo, 1, v4
	s_cbranch_vccnz .LBB29_3
; %bb.19:
	v_cmp_gt_f64_e32 vcc_lo, 0, v[0:1]
	v_xor_b32_e32 v4, 0x80000000, v1
	v_xor_b32_e32 v5, 0x80000000, v3
	s_delay_alu instid0(VALU_DEP_2) | instskip(SKIP_1) | instid1(VALU_DEP_3)
	v_cndmask_b32_e32 v1, v1, v4, vcc_lo
	v_cmp_gt_f64_e32 vcc_lo, 0, v[2:3]
	v_cndmask_b32_e32 v3, v3, v5, vcc_lo
	s_delay_alu instid0(VALU_DEP_3) | instskip(SKIP_1) | instid1(VALU_DEP_3)
	v_cmp_le_f64_e32 vcc_lo, 1, v[0:1]
	v_cmp_gt_f64_e64 s0, 0x100000, v[0:1]
	v_cmp_le_f64_e64 s1, 1, v[2:3]
	v_cmp_gt_f64_e64 s2, 0x100000, v[2:3]
	s_and_b32 s0, vcc_lo, s0
	s_and_b32 s1, s1, s2
	s_delay_alu instid0(SALU_CYCLE_1) | instskip(NEXT) | instid1(SALU_CYCLE_1)
	s_or_b32 s0, s0, s1
	s_and_b32 exec_lo, exec_lo, s0
	s_cbranch_execz .LBB29_3
; %bb.20:
	v_dual_mov_b32 v0, 0 :: v_dual_mov_b32 v1, 1
	global_store_b8 v0, v1, s[8:9] offset:3
	s_endpgm
	.section	.rodata,"a",@progbits
	.p2align	6, 0x0
	.amdhsa_kernel _ZL49rocblas_check_numerics_sym_herm_tri_matrix_kernelILi16ELi16EPK19rocblas_complex_numIdEEvbiT1_lllP24rocblas_check_numerics_s
		.amdhsa_group_segment_fixed_size 0
		.amdhsa_private_segment_fixed_size 0
		.amdhsa_kernarg_size 304
		.amdhsa_user_sgpr_count 2
		.amdhsa_user_sgpr_dispatch_ptr 0
		.amdhsa_user_sgpr_queue_ptr 0
		.amdhsa_user_sgpr_kernarg_segment_ptr 1
		.amdhsa_user_sgpr_dispatch_id 0
		.amdhsa_user_sgpr_kernarg_preload_length 0
		.amdhsa_user_sgpr_kernarg_preload_offset 0
		.amdhsa_user_sgpr_private_segment_size 0
		.amdhsa_wavefront_size32 1
		.amdhsa_uses_dynamic_stack 0
		.amdhsa_enable_private_segment 0
		.amdhsa_system_sgpr_workgroup_id_x 1
		.amdhsa_system_sgpr_workgroup_id_y 1
		.amdhsa_system_sgpr_workgroup_id_z 1
		.amdhsa_system_sgpr_workgroup_info 0
		.amdhsa_system_vgpr_workitem_id 1
		.amdhsa_next_free_vgpr 7
		.amdhsa_next_free_sgpr 13
		.amdhsa_named_barrier_count 0
		.amdhsa_reserve_vcc 1
		.amdhsa_float_round_mode_32 0
		.amdhsa_float_round_mode_16_64 0
		.amdhsa_float_denorm_mode_32 3
		.amdhsa_float_denorm_mode_16_64 3
		.amdhsa_fp16_overflow 0
		.amdhsa_memory_ordered 1
		.amdhsa_forward_progress 1
		.amdhsa_inst_pref_size 7
		.amdhsa_round_robin_scheduling 0
		.amdhsa_exception_fp_ieee_invalid_op 0
		.amdhsa_exception_fp_denorm_src 0
		.amdhsa_exception_fp_ieee_div_zero 0
		.amdhsa_exception_fp_ieee_overflow 0
		.amdhsa_exception_fp_ieee_underflow 0
		.amdhsa_exception_fp_ieee_inexact 0
		.amdhsa_exception_int_div_zero 0
	.end_amdhsa_kernel
	.section	.text._ZL49rocblas_check_numerics_sym_herm_tri_matrix_kernelILi16ELi16EPK19rocblas_complex_numIdEEvbiT1_lllP24rocblas_check_numerics_s,"axG",@progbits,_ZL49rocblas_check_numerics_sym_herm_tri_matrix_kernelILi16ELi16EPK19rocblas_complex_numIdEEvbiT1_lllP24rocblas_check_numerics_s,comdat
.Lfunc_end29:
	.size	_ZL49rocblas_check_numerics_sym_herm_tri_matrix_kernelILi16ELi16EPK19rocblas_complex_numIdEEvbiT1_lllP24rocblas_check_numerics_s, .Lfunc_end29-_ZL49rocblas_check_numerics_sym_herm_tri_matrix_kernelILi16ELi16EPK19rocblas_complex_numIdEEvbiT1_lllP24rocblas_check_numerics_s
                                        ; -- End function
	.set _ZL49rocblas_check_numerics_sym_herm_tri_matrix_kernelILi16ELi16EPK19rocblas_complex_numIdEEvbiT1_lllP24rocblas_check_numerics_s.num_vgpr, 7
	.set _ZL49rocblas_check_numerics_sym_herm_tri_matrix_kernelILi16ELi16EPK19rocblas_complex_numIdEEvbiT1_lllP24rocblas_check_numerics_s.num_agpr, 0
	.set _ZL49rocblas_check_numerics_sym_herm_tri_matrix_kernelILi16ELi16EPK19rocblas_complex_numIdEEvbiT1_lllP24rocblas_check_numerics_s.numbered_sgpr, 13
	.set _ZL49rocblas_check_numerics_sym_herm_tri_matrix_kernelILi16ELi16EPK19rocblas_complex_numIdEEvbiT1_lllP24rocblas_check_numerics_s.num_named_barrier, 0
	.set _ZL49rocblas_check_numerics_sym_herm_tri_matrix_kernelILi16ELi16EPK19rocblas_complex_numIdEEvbiT1_lllP24rocblas_check_numerics_s.private_seg_size, 0
	.set _ZL49rocblas_check_numerics_sym_herm_tri_matrix_kernelILi16ELi16EPK19rocblas_complex_numIdEEvbiT1_lllP24rocblas_check_numerics_s.uses_vcc, 1
	.set _ZL49rocblas_check_numerics_sym_herm_tri_matrix_kernelILi16ELi16EPK19rocblas_complex_numIdEEvbiT1_lllP24rocblas_check_numerics_s.uses_flat_scratch, 0
	.set _ZL49rocblas_check_numerics_sym_herm_tri_matrix_kernelILi16ELi16EPK19rocblas_complex_numIdEEvbiT1_lllP24rocblas_check_numerics_s.has_dyn_sized_stack, 0
	.set _ZL49rocblas_check_numerics_sym_herm_tri_matrix_kernelILi16ELi16EPK19rocblas_complex_numIdEEvbiT1_lllP24rocblas_check_numerics_s.has_recursion, 0
	.set _ZL49rocblas_check_numerics_sym_herm_tri_matrix_kernelILi16ELi16EPK19rocblas_complex_numIdEEvbiT1_lllP24rocblas_check_numerics_s.has_indirect_call, 0
	.section	.AMDGPU.csdata,"",@progbits
; Kernel info:
; codeLenInByte = 840
; TotalNumSgprs: 15
; NumVgprs: 7
; ScratchSize: 0
; MemoryBound: 0
; FloatMode: 240
; IeeeMode: 1
; LDSByteSize: 0 bytes/workgroup (compile time only)
; SGPRBlocks: 0
; VGPRBlocks: 0
; NumSGPRsForWavesPerEU: 15
; NumVGPRsForWavesPerEU: 7
; NamedBarCnt: 0
; Occupancy: 16
; WaveLimiterHint : 0
; COMPUTE_PGM_RSRC2:SCRATCH_EN: 0
; COMPUTE_PGM_RSRC2:USER_SGPR: 2
; COMPUTE_PGM_RSRC2:TRAP_HANDLER: 0
; COMPUTE_PGM_RSRC2:TGID_X_EN: 1
; COMPUTE_PGM_RSRC2:TGID_Y_EN: 1
; COMPUTE_PGM_RSRC2:TGID_Z_EN: 1
; COMPUTE_PGM_RSRC2:TIDIG_COMP_CNT: 1
	.section	.text._ZL39rocblas_check_numerics_ge_matrix_kernelILi16ELi16EPKPK19rocblas_complex_numIdEEviiT1_lllP24rocblas_check_numerics_s,"axG",@progbits,_ZL39rocblas_check_numerics_ge_matrix_kernelILi16ELi16EPKPK19rocblas_complex_numIdEEviiT1_lllP24rocblas_check_numerics_s,comdat
	.globl	_ZL39rocblas_check_numerics_ge_matrix_kernelILi16ELi16EPKPK19rocblas_complex_numIdEEviiT1_lllP24rocblas_check_numerics_s ; -- Begin function _ZL39rocblas_check_numerics_ge_matrix_kernelILi16ELi16EPKPK19rocblas_complex_numIdEEviiT1_lllP24rocblas_check_numerics_s
	.p2align	8
	.type	_ZL39rocblas_check_numerics_ge_matrix_kernelILi16ELi16EPKPK19rocblas_complex_numIdEEviiT1_lllP24rocblas_check_numerics_s,@function
_ZL39rocblas_check_numerics_ge_matrix_kernelILi16ELi16EPKPK19rocblas_complex_numIdEEviiT1_lllP24rocblas_check_numerics_s: ; @_ZL39rocblas_check_numerics_ge_matrix_kernelILi16ELi16EPKPK19rocblas_complex_numIdEEviiT1_lllP24rocblas_check_numerics_s
; %bb.0:
	s_clause 0x1
	s_load_b32 s2, s[0:1], 0x3c
	s_load_b64 s[4:5], s[0:1], 0x0
	s_bfe_u32 s7, ttmp6, 0x40010
	s_bfe_u32 s10, ttmp6, 0x4000c
	s_and_b32 s6, ttmp7, 0xffff
	s_add_co_i32 s7, s7, 1
	s_add_co_i32 s10, s10, 1
	s_bfe_u32 s8, ttmp6, 0x40004
	s_and_b32 s9, ttmp6, 15
	s_mul_i32 s7, s6, s7
	s_mul_i32 s10, ttmp9, s10
	s_getreg_b32 s3, hwreg(HW_REG_IB_STS2, 6, 4)
	v_and_b32_e32 v1, 0x3ff, v0
	v_bfe_u32 v2, v0, 10, 10
	s_add_co_i32 s8, s8, s7
	s_add_co_i32 s9, s9, s10
	s_wait_kmcnt 0x0
	s_lshr_b32 s7, s2, 16
	s_and_b32 s2, s2, 0xffff
	s_cmp_eq_u32 s3, 0
	s_cselect_b32 s9, ttmp9, s9
	s_cselect_b32 s6, s6, s8
	v_mad_u32 v0, s9, s2, v1
	v_mad_u32 v2, s6, s7, v2
	s_delay_alu instid0(VALU_DEP_2) | instskip(NEXT) | instid1(VALU_DEP_2)
	v_cmp_gt_i32_e32 vcc_lo, s4, v0
	v_cmp_gt_i32_e64 s2, s5, v2
	s_and_b32 s2, vcc_lo, s2
	s_delay_alu instid0(SALU_CYCLE_1)
	s_and_saveexec_b32 s4, s2
	s_cbranch_execz .LBB30_16
; %bb.1:
	s_clause 0x1
	s_load_b64 s[4:5], s[0:1], 0x18
	s_load_b128 s[8:11], s[0:1], 0x8
	v_dual_mov_b32 v4, 0 :: v_dual_ashrrev_i32 v3, 31, v2
	s_bfe_u32 s2, ttmp6, 0x40014
	s_lshr_b32 s6, ttmp7, 16
	s_add_co_i32 s2, s2, 1
	s_delay_alu instid0(SALU_CYCLE_1) | instskip(SKIP_3) | instid1(SALU_CYCLE_1)
	s_mul_i32 s2, s6, s2
	s_wait_kmcnt 0x0
	v_mul_u64_e32 v[2:3], s[4:5], v[2:3]
	s_bfe_u32 s4, ttmp6, 0x40008
	s_add_co_i32 s2, s4, s2
	s_load_b64 s[4:5], s[0:1], 0x28
	s_cmp_eq_u32 s3, 0
	s_wait_xcnt 0x0
	s_cselect_b32 s0, s6, s2
	s_lshl_b64 s[2:3], s[10:11], 4
	s_load_b64 s[0:1], s[8:9], s0 offset:0x0 scale_offset
	s_wait_kmcnt 0x0
	global_load_u8 v5, v4, s[4:5] offset:1
	v_ashrrev_i32_e32 v1, 31, v0
	s_add_nc_u64 s[0:1], s[0:1], s[2:3]
	s_delay_alu instid0(SALU_CYCLE_1) | instskip(SKIP_2) | instid1(VALU_DEP_2)
	v_lshl_add_u64 v[2:3], v[2:3], 4, s[0:1]
	s_wait_loadcnt 0x0
	v_and_b32_e32 v5, 1, v5
	v_lshl_add_u64 v[0:1], v[0:1], 4, v[2:3]
	s_delay_alu instid0(VALU_DEP_2)
	v_cmp_eq_u32_e32 vcc_lo, 1, v5
	flat_load_b128 v[0:3], v[0:1]
	s_cbranch_vccnz .LBB30_5
; %bb.2:
	s_wait_loadcnt_dscnt 0x0
	v_cmp_eq_f64_e32 vcc_lo, 0, v[0:1]
	v_cmp_eq_f64_e64 s0, 0, v[2:3]
	s_and_b32 s1, vcc_lo, s0
	s_delay_alu instid0(SALU_CYCLE_1)
	s_and_saveexec_b32 s0, s1
	s_cbranch_execz .LBB30_4
; %bb.3:
	v_dual_mov_b32 v5, 0 :: v_dual_mov_b32 v6, 1
	global_store_b8 v5, v6, s[4:5] offset:1
.LBB30_4:
	s_wait_xcnt 0x0
	s_or_b32 exec_lo, exec_lo, s0
.LBB30_5:
	global_load_u8 v4, v4, s[4:5]
	s_wait_loadcnt 0x0
	v_and_b32_e32 v4, 1, v4
	s_delay_alu instid0(VALU_DEP_1)
	v_cmp_eq_u32_e32 vcc_lo, 1, v4
	s_cbranch_vccnz .LBB30_9
; %bb.6:
	s_mov_b32 s0, exec_lo
	s_wait_dscnt 0x0
	v_cmpx_u_f64_e32 v[0:1], v[2:3]
	s_cbranch_execz .LBB30_8
; %bb.7:
	v_dual_mov_b32 v4, 0 :: v_dual_mov_b32 v5, 1
	global_store_b8 v4, v5, s[4:5]
.LBB30_8:
	s_wait_xcnt 0x0
	s_or_b32 exec_lo, exec_lo, s0
.LBB30_9:
	v_mov_b32_e32 v4, 0
	global_load_u8 v5, v4, s[4:5] offset:2
	s_wait_loadcnt 0x0
	v_and_b32_e32 v5, 1, v5
	s_delay_alu instid0(VALU_DEP_1)
	v_cmp_eq_u32_e32 vcc_lo, 1, v5
	s_cbranch_vccnz .LBB30_13
; %bb.10:
	s_wait_dscnt 0x0
	v_cmp_class_f64_e64 s0, v[0:1], 0x204
	v_cmp_class_f64_e64 s1, v[2:3], 0x204
	s_or_b32 s1, s0, s1
	s_wait_xcnt 0x0
	s_and_saveexec_b32 s0, s1
	s_cbranch_execz .LBB30_12
; %bb.11:
	v_dual_mov_b32 v5, 0 :: v_dual_mov_b32 v6, 1
	global_store_b8 v5, v6, s[4:5] offset:2
.LBB30_12:
	s_wait_xcnt 0x0
	s_or_b32 exec_lo, exec_lo, s0
.LBB30_13:
	global_load_u8 v4, v4, s[4:5] offset:3
	s_wait_loadcnt 0x0
	v_and_b32_e32 v4, 1, v4
	s_delay_alu instid0(VALU_DEP_1)
	v_cmp_eq_u32_e32 vcc_lo, 1, v4
	s_cbranch_vccnz .LBB30_16
; %bb.14:
	s_wait_dscnt 0x0
	v_cmp_gt_f64_e32 vcc_lo, 0, v[0:1]
	v_xor_b32_e32 v4, 0x80000000, v1
	v_xor_b32_e32 v5, 0x80000000, v3
	s_delay_alu instid0(VALU_DEP_2) | instskip(SKIP_1) | instid1(VALU_DEP_3)
	v_cndmask_b32_e32 v1, v1, v4, vcc_lo
	v_cmp_gt_f64_e32 vcc_lo, 0, v[2:3]
	v_cndmask_b32_e32 v3, v3, v5, vcc_lo
	s_delay_alu instid0(VALU_DEP_3) | instskip(SKIP_1) | instid1(VALU_DEP_3)
	v_cmp_le_f64_e32 vcc_lo, 1, v[0:1]
	v_cmp_gt_f64_e64 s0, 0x100000, v[0:1]
	v_cmp_le_f64_e64 s1, 1, v[2:3]
	v_cmp_gt_f64_e64 s2, 0x100000, v[2:3]
	s_and_b32 s0, vcc_lo, s0
	s_and_b32 s1, s1, s2
	s_delay_alu instid0(SALU_CYCLE_1) | instskip(NEXT) | instid1(SALU_CYCLE_1)
	s_or_b32 s0, s0, s1
	s_and_b32 exec_lo, exec_lo, s0
	s_cbranch_execz .LBB30_16
; %bb.15:
	v_dual_mov_b32 v0, 0 :: v_dual_mov_b32 v1, 1
	global_store_b8 v0, v1, s[4:5] offset:3
.LBB30_16:
	s_endpgm
	.section	.rodata,"a",@progbits
	.p2align	6, 0x0
	.amdhsa_kernel _ZL39rocblas_check_numerics_ge_matrix_kernelILi16ELi16EPKPK19rocblas_complex_numIdEEviiT1_lllP24rocblas_check_numerics_s
		.amdhsa_group_segment_fixed_size 0
		.amdhsa_private_segment_fixed_size 0
		.amdhsa_kernarg_size 304
		.amdhsa_user_sgpr_count 2
		.amdhsa_user_sgpr_dispatch_ptr 0
		.amdhsa_user_sgpr_queue_ptr 0
		.amdhsa_user_sgpr_kernarg_segment_ptr 1
		.amdhsa_user_sgpr_dispatch_id 0
		.amdhsa_user_sgpr_kernarg_preload_length 0
		.amdhsa_user_sgpr_kernarg_preload_offset 0
		.amdhsa_user_sgpr_private_segment_size 0
		.amdhsa_wavefront_size32 1
		.amdhsa_uses_dynamic_stack 0
		.amdhsa_enable_private_segment 0
		.amdhsa_system_sgpr_workgroup_id_x 1
		.amdhsa_system_sgpr_workgroup_id_y 1
		.amdhsa_system_sgpr_workgroup_id_z 1
		.amdhsa_system_sgpr_workgroup_info 0
		.amdhsa_system_vgpr_workitem_id 1
		.amdhsa_next_free_vgpr 7
		.amdhsa_next_free_sgpr 12
		.amdhsa_named_barrier_count 0
		.amdhsa_reserve_vcc 1
		.amdhsa_float_round_mode_32 0
		.amdhsa_float_round_mode_16_64 0
		.amdhsa_float_denorm_mode_32 3
		.amdhsa_float_denorm_mode_16_64 3
		.amdhsa_fp16_overflow 0
		.amdhsa_memory_ordered 1
		.amdhsa_forward_progress 1
		.amdhsa_inst_pref_size 6
		.amdhsa_round_robin_scheduling 0
		.amdhsa_exception_fp_ieee_invalid_op 0
		.amdhsa_exception_fp_denorm_src 0
		.amdhsa_exception_fp_ieee_div_zero 0
		.amdhsa_exception_fp_ieee_overflow 0
		.amdhsa_exception_fp_ieee_underflow 0
		.amdhsa_exception_fp_ieee_inexact 0
		.amdhsa_exception_int_div_zero 0
	.end_amdhsa_kernel
	.section	.text._ZL39rocblas_check_numerics_ge_matrix_kernelILi16ELi16EPKPK19rocblas_complex_numIdEEviiT1_lllP24rocblas_check_numerics_s,"axG",@progbits,_ZL39rocblas_check_numerics_ge_matrix_kernelILi16ELi16EPKPK19rocblas_complex_numIdEEviiT1_lllP24rocblas_check_numerics_s,comdat
.Lfunc_end30:
	.size	_ZL39rocblas_check_numerics_ge_matrix_kernelILi16ELi16EPKPK19rocblas_complex_numIdEEviiT1_lllP24rocblas_check_numerics_s, .Lfunc_end30-_ZL39rocblas_check_numerics_ge_matrix_kernelILi16ELi16EPKPK19rocblas_complex_numIdEEviiT1_lllP24rocblas_check_numerics_s
                                        ; -- End function
	.set _ZL39rocblas_check_numerics_ge_matrix_kernelILi16ELi16EPKPK19rocblas_complex_numIdEEviiT1_lllP24rocblas_check_numerics_s.num_vgpr, 7
	.set _ZL39rocblas_check_numerics_ge_matrix_kernelILi16ELi16EPKPK19rocblas_complex_numIdEEviiT1_lllP24rocblas_check_numerics_s.num_agpr, 0
	.set _ZL39rocblas_check_numerics_ge_matrix_kernelILi16ELi16EPKPK19rocblas_complex_numIdEEviiT1_lllP24rocblas_check_numerics_s.numbered_sgpr, 12
	.set _ZL39rocblas_check_numerics_ge_matrix_kernelILi16ELi16EPKPK19rocblas_complex_numIdEEviiT1_lllP24rocblas_check_numerics_s.num_named_barrier, 0
	.set _ZL39rocblas_check_numerics_ge_matrix_kernelILi16ELi16EPKPK19rocblas_complex_numIdEEviiT1_lllP24rocblas_check_numerics_s.private_seg_size, 0
	.set _ZL39rocblas_check_numerics_ge_matrix_kernelILi16ELi16EPKPK19rocblas_complex_numIdEEviiT1_lllP24rocblas_check_numerics_s.uses_vcc, 1
	.set _ZL39rocblas_check_numerics_ge_matrix_kernelILi16ELi16EPKPK19rocblas_complex_numIdEEviiT1_lllP24rocblas_check_numerics_s.uses_flat_scratch, 0
	.set _ZL39rocblas_check_numerics_ge_matrix_kernelILi16ELi16EPKPK19rocblas_complex_numIdEEviiT1_lllP24rocblas_check_numerics_s.has_dyn_sized_stack, 0
	.set _ZL39rocblas_check_numerics_ge_matrix_kernelILi16ELi16EPKPK19rocblas_complex_numIdEEviiT1_lllP24rocblas_check_numerics_s.has_recursion, 0
	.set _ZL39rocblas_check_numerics_ge_matrix_kernelILi16ELi16EPKPK19rocblas_complex_numIdEEviiT1_lllP24rocblas_check_numerics_s.has_indirect_call, 0
	.section	.AMDGPU.csdata,"",@progbits
; Kernel info:
; codeLenInByte = 760
; TotalNumSgprs: 14
; NumVgprs: 7
; ScratchSize: 0
; MemoryBound: 0
; FloatMode: 240
; IeeeMode: 1
; LDSByteSize: 0 bytes/workgroup (compile time only)
; SGPRBlocks: 0
; VGPRBlocks: 0
; NumSGPRsForWavesPerEU: 14
; NumVGPRsForWavesPerEU: 7
; NamedBarCnt: 0
; Occupancy: 16
; WaveLimiterHint : 1
; COMPUTE_PGM_RSRC2:SCRATCH_EN: 0
; COMPUTE_PGM_RSRC2:USER_SGPR: 2
; COMPUTE_PGM_RSRC2:TRAP_HANDLER: 0
; COMPUTE_PGM_RSRC2:TGID_X_EN: 1
; COMPUTE_PGM_RSRC2:TGID_Y_EN: 1
; COMPUTE_PGM_RSRC2:TGID_Z_EN: 1
; COMPUTE_PGM_RSRC2:TIDIG_COMP_CNT: 1
	.section	.text._ZL49rocblas_check_numerics_sym_herm_tri_matrix_kernelILi16ELi16EPKPK19rocblas_complex_numIdEEvbiT1_lllP24rocblas_check_numerics_s,"axG",@progbits,_ZL49rocblas_check_numerics_sym_herm_tri_matrix_kernelILi16ELi16EPKPK19rocblas_complex_numIdEEvbiT1_lllP24rocblas_check_numerics_s,comdat
	.globl	_ZL49rocblas_check_numerics_sym_herm_tri_matrix_kernelILi16ELi16EPKPK19rocblas_complex_numIdEEvbiT1_lllP24rocblas_check_numerics_s ; -- Begin function _ZL49rocblas_check_numerics_sym_herm_tri_matrix_kernelILi16ELi16EPKPK19rocblas_complex_numIdEEvbiT1_lllP24rocblas_check_numerics_s
	.p2align	8
	.type	_ZL49rocblas_check_numerics_sym_herm_tri_matrix_kernelILi16ELi16EPKPK19rocblas_complex_numIdEEvbiT1_lllP24rocblas_check_numerics_s,@function
_ZL49rocblas_check_numerics_sym_herm_tri_matrix_kernelILi16ELi16EPKPK19rocblas_complex_numIdEEvbiT1_lllP24rocblas_check_numerics_s: ; @_ZL49rocblas_check_numerics_sym_herm_tri_matrix_kernelILi16ELi16EPKPK19rocblas_complex_numIdEEvbiT1_lllP24rocblas_check_numerics_s
; %bb.0:
	s_clause 0x1
	s_load_b64 s[2:3], s[0:1], 0x0
	s_load_b32 s5, s[0:1], 0x3c
	s_bfe_u32 s7, ttmp6, 0x4000c
	s_bfe_u32 s9, ttmp6, 0x40010
	s_and_b32 s8, ttmp7, 0xffff
	s_add_co_i32 s7, s7, 1
	s_add_co_i32 s9, s9, 1
	s_and_b32 s6, ttmp6, 15
	s_bfe_u32 s10, ttmp6, 0x40004
	s_mul_i32 s7, ttmp9, s7
	s_mul_i32 s9, s8, s9
	s_getreg_b32 s4, hwreg(HW_REG_IB_STS2, 6, 4)
	v_and_b32_e32 v1, 0x3ff, v0
	v_bfe_u32 v2, v0, 10, 10
	s_add_co_i32 s6, s6, s7
	s_add_co_i32 s10, s10, s9
	s_wait_kmcnt 0x0
	s_and_b32 s2, s2, 1
	s_lshr_b32 s7, s5, 16
	s_and_b32 s5, s5, 0xffff
	s_cmp_eq_u32 s4, 0
	s_cselect_b32 s6, ttmp9, s6
	s_cselect_b32 s8, s8, s10
	v_mad_u32 v0, s6, s5, v1
	v_mad_u32 v2, s8, s7, v2
	s_mov_b32 s5, 0
	s_cmp_eq_u32 s2, 0
	s_mov_b32 s2, -1
	s_cbranch_scc1 .LBB31_4
; %bb.1:
	s_and_not1_b32 vcc_lo, exec_lo, s2
	s_cbranch_vccz .LBB31_5
.LBB31_2:
	s_and_saveexec_b32 s2, s5
	s_cbranch_execnz .LBB31_6
.LBB31_3:
	s_endpgm
.LBB31_4:
	s_delay_alu instid0(VALU_DEP_2) | instskip(NEXT) | instid1(VALU_DEP_2)
	v_cmp_gt_i32_e32 vcc_lo, s3, v0
	v_cmp_le_i32_e64 s2, v2, v0
	s_and_b32 s5, vcc_lo, s2
	s_delay_alu instid0(SALU_CYCLE_1)
	s_and_b32 s5, s5, exec_lo
	s_cbranch_execnz .LBB31_2
.LBB31_5:
	s_delay_alu instid0(VALU_DEP_1) | instskip(NEXT) | instid1(VALU_DEP_3)
	v_cmp_gt_i32_e32 vcc_lo, s3, v2
	v_cmp_le_i32_e64 s2, v0, v2
	s_and_not1_b32 s3, s5, exec_lo
	s_and_b32 s2, vcc_lo, s2
	s_delay_alu instid0(SALU_CYCLE_1) | instskip(NEXT) | instid1(SALU_CYCLE_1)
	s_and_b32 s2, s2, exec_lo
	s_or_b32 s5, s3, s2
	s_delay_alu instid0(SALU_CYCLE_1)
	s_and_saveexec_b32 s2, s5
	s_cbranch_execz .LBB31_3
.LBB31_6:
	s_clause 0x1
	s_load_b64 s[2:3], s[0:1], 0x18
	s_load_b128 s[8:11], s[0:1], 0x8
	v_dual_mov_b32 v4, 0 :: v_dual_ashrrev_i32 v3, 31, v2
	s_bfe_u32 s5, ttmp6, 0x40014
	s_lshr_b32 s6, ttmp7, 16
	s_add_co_i32 s5, s5, 1
	s_wait_kmcnt 0x0
	v_mul_u64_e32 v[2:3], s[2:3], v[2:3]
	s_mul_i32 s2, s6, s5
	s_bfe_u32 s3, ttmp6, 0x40008
	s_delay_alu instid0(SALU_CYCLE_1)
	s_add_co_i32 s3, s3, s2
	s_cmp_eq_u32 s4, 0
	s_load_b64 s[4:5], s[0:1], 0x28
	s_wait_xcnt 0x0
	s_cselect_b32 s0, s6, s3
	s_lshl_b64 s[2:3], s[10:11], 4
	s_load_b64 s[0:1], s[8:9], s0 offset:0x0 scale_offset
	s_wait_kmcnt 0x0
	global_load_u8 v5, v4, s[4:5] offset:1
	v_ashrrev_i32_e32 v1, 31, v0
	s_add_nc_u64 s[0:1], s[0:1], s[2:3]
	s_delay_alu instid0(SALU_CYCLE_1) | instskip(SKIP_2) | instid1(VALU_DEP_2)
	v_lshl_add_u64 v[2:3], v[2:3], 4, s[0:1]
	s_wait_loadcnt 0x0
	v_and_b32_e32 v5, 1, v5
	v_lshl_add_u64 v[0:1], v[0:1], 4, v[2:3]
	s_delay_alu instid0(VALU_DEP_2)
	v_cmp_eq_u32_e32 vcc_lo, 1, v5
	flat_load_b128 v[0:3], v[0:1]
	s_cbranch_vccnz .LBB31_10
; %bb.7:
	s_wait_loadcnt_dscnt 0x0
	v_cmp_eq_f64_e32 vcc_lo, 0, v[0:1]
	v_cmp_eq_f64_e64 s0, 0, v[2:3]
	s_and_b32 s1, vcc_lo, s0
	s_delay_alu instid0(SALU_CYCLE_1)
	s_and_saveexec_b32 s0, s1
	s_cbranch_execz .LBB31_9
; %bb.8:
	v_dual_mov_b32 v5, 0 :: v_dual_mov_b32 v6, 1
	global_store_b8 v5, v6, s[4:5] offset:1
.LBB31_9:
	s_wait_xcnt 0x0
	s_or_b32 exec_lo, exec_lo, s0
.LBB31_10:
	global_load_u8 v4, v4, s[4:5]
	s_wait_loadcnt 0x0
	v_and_b32_e32 v4, 1, v4
	s_delay_alu instid0(VALU_DEP_1)
	v_cmp_eq_u32_e32 vcc_lo, 1, v4
	s_cbranch_vccnz .LBB31_14
; %bb.11:
	s_mov_b32 s0, exec_lo
	s_wait_dscnt 0x0
	v_cmpx_u_f64_e32 v[0:1], v[2:3]
	s_cbranch_execz .LBB31_13
; %bb.12:
	v_dual_mov_b32 v4, 0 :: v_dual_mov_b32 v5, 1
	global_store_b8 v4, v5, s[4:5]
.LBB31_13:
	s_wait_xcnt 0x0
	s_or_b32 exec_lo, exec_lo, s0
.LBB31_14:
	v_mov_b32_e32 v4, 0
	global_load_u8 v5, v4, s[4:5] offset:2
	s_wait_loadcnt 0x0
	v_and_b32_e32 v5, 1, v5
	s_delay_alu instid0(VALU_DEP_1)
	v_cmp_eq_u32_e32 vcc_lo, 1, v5
	s_cbranch_vccnz .LBB31_18
; %bb.15:
	s_wait_dscnt 0x0
	v_cmp_class_f64_e64 s0, v[0:1], 0x204
	v_cmp_class_f64_e64 s1, v[2:3], 0x204
	s_or_b32 s1, s0, s1
	s_wait_xcnt 0x0
	s_and_saveexec_b32 s0, s1
	s_cbranch_execz .LBB31_17
; %bb.16:
	v_dual_mov_b32 v5, 0 :: v_dual_mov_b32 v6, 1
	global_store_b8 v5, v6, s[4:5] offset:2
.LBB31_17:
	s_wait_xcnt 0x0
	s_or_b32 exec_lo, exec_lo, s0
.LBB31_18:
	global_load_u8 v4, v4, s[4:5] offset:3
	s_wait_loadcnt 0x0
	v_and_b32_e32 v4, 1, v4
	s_delay_alu instid0(VALU_DEP_1)
	v_cmp_eq_u32_e32 vcc_lo, 1, v4
	s_cbranch_vccnz .LBB31_3
; %bb.19:
	s_wait_dscnt 0x0
	v_cmp_gt_f64_e32 vcc_lo, 0, v[0:1]
	v_xor_b32_e32 v4, 0x80000000, v1
	v_xor_b32_e32 v5, 0x80000000, v3
	s_delay_alu instid0(VALU_DEP_2) | instskip(SKIP_1) | instid1(VALU_DEP_3)
	v_cndmask_b32_e32 v1, v1, v4, vcc_lo
	v_cmp_gt_f64_e32 vcc_lo, 0, v[2:3]
	v_cndmask_b32_e32 v3, v3, v5, vcc_lo
	s_delay_alu instid0(VALU_DEP_3) | instskip(SKIP_1) | instid1(VALU_DEP_3)
	v_cmp_le_f64_e32 vcc_lo, 1, v[0:1]
	v_cmp_gt_f64_e64 s0, 0x100000, v[0:1]
	v_cmp_le_f64_e64 s1, 1, v[2:3]
	v_cmp_gt_f64_e64 s2, 0x100000, v[2:3]
	s_and_b32 s0, vcc_lo, s0
	s_and_b32 s1, s1, s2
	s_delay_alu instid0(SALU_CYCLE_1) | instskip(NEXT) | instid1(SALU_CYCLE_1)
	s_or_b32 s0, s0, s1
	s_and_b32 exec_lo, exec_lo, s0
	s_cbranch_execz .LBB31_3
; %bb.20:
	v_dual_mov_b32 v0, 0 :: v_dual_mov_b32 v1, 1
	global_store_b8 v0, v1, s[4:5] offset:3
	s_endpgm
	.section	.rodata,"a",@progbits
	.p2align	6, 0x0
	.amdhsa_kernel _ZL49rocblas_check_numerics_sym_herm_tri_matrix_kernelILi16ELi16EPKPK19rocblas_complex_numIdEEvbiT1_lllP24rocblas_check_numerics_s
		.amdhsa_group_segment_fixed_size 0
		.amdhsa_private_segment_fixed_size 0
		.amdhsa_kernarg_size 304
		.amdhsa_user_sgpr_count 2
		.amdhsa_user_sgpr_dispatch_ptr 0
		.amdhsa_user_sgpr_queue_ptr 0
		.amdhsa_user_sgpr_kernarg_segment_ptr 1
		.amdhsa_user_sgpr_dispatch_id 0
		.amdhsa_user_sgpr_kernarg_preload_length 0
		.amdhsa_user_sgpr_kernarg_preload_offset 0
		.amdhsa_user_sgpr_private_segment_size 0
		.amdhsa_wavefront_size32 1
		.amdhsa_uses_dynamic_stack 0
		.amdhsa_enable_private_segment 0
		.amdhsa_system_sgpr_workgroup_id_x 1
		.amdhsa_system_sgpr_workgroup_id_y 1
		.amdhsa_system_sgpr_workgroup_id_z 1
		.amdhsa_system_sgpr_workgroup_info 0
		.amdhsa_system_vgpr_workitem_id 1
		.amdhsa_next_free_vgpr 7
		.amdhsa_next_free_sgpr 12
		.amdhsa_named_barrier_count 0
		.amdhsa_reserve_vcc 1
		.amdhsa_float_round_mode_32 0
		.amdhsa_float_round_mode_16_64 0
		.amdhsa_float_denorm_mode_32 3
		.amdhsa_float_denorm_mode_16_64 3
		.amdhsa_fp16_overflow 0
		.amdhsa_memory_ordered 1
		.amdhsa_forward_progress 1
		.amdhsa_inst_pref_size 7
		.amdhsa_round_robin_scheduling 0
		.amdhsa_exception_fp_ieee_invalid_op 0
		.amdhsa_exception_fp_denorm_src 0
		.amdhsa_exception_fp_ieee_div_zero 0
		.amdhsa_exception_fp_ieee_overflow 0
		.amdhsa_exception_fp_ieee_underflow 0
		.amdhsa_exception_fp_ieee_inexact 0
		.amdhsa_exception_int_div_zero 0
	.end_amdhsa_kernel
	.section	.text._ZL49rocblas_check_numerics_sym_herm_tri_matrix_kernelILi16ELi16EPKPK19rocblas_complex_numIdEEvbiT1_lllP24rocblas_check_numerics_s,"axG",@progbits,_ZL49rocblas_check_numerics_sym_herm_tri_matrix_kernelILi16ELi16EPKPK19rocblas_complex_numIdEEvbiT1_lllP24rocblas_check_numerics_s,comdat
.Lfunc_end31:
	.size	_ZL49rocblas_check_numerics_sym_herm_tri_matrix_kernelILi16ELi16EPKPK19rocblas_complex_numIdEEvbiT1_lllP24rocblas_check_numerics_s, .Lfunc_end31-_ZL49rocblas_check_numerics_sym_herm_tri_matrix_kernelILi16ELi16EPKPK19rocblas_complex_numIdEEvbiT1_lllP24rocblas_check_numerics_s
                                        ; -- End function
	.set _ZL49rocblas_check_numerics_sym_herm_tri_matrix_kernelILi16ELi16EPKPK19rocblas_complex_numIdEEvbiT1_lllP24rocblas_check_numerics_s.num_vgpr, 7
	.set _ZL49rocblas_check_numerics_sym_herm_tri_matrix_kernelILi16ELi16EPKPK19rocblas_complex_numIdEEvbiT1_lllP24rocblas_check_numerics_s.num_agpr, 0
	.set _ZL49rocblas_check_numerics_sym_herm_tri_matrix_kernelILi16ELi16EPKPK19rocblas_complex_numIdEEvbiT1_lllP24rocblas_check_numerics_s.numbered_sgpr, 12
	.set _ZL49rocblas_check_numerics_sym_herm_tri_matrix_kernelILi16ELi16EPKPK19rocblas_complex_numIdEEvbiT1_lllP24rocblas_check_numerics_s.num_named_barrier, 0
	.set _ZL49rocblas_check_numerics_sym_herm_tri_matrix_kernelILi16ELi16EPKPK19rocblas_complex_numIdEEvbiT1_lllP24rocblas_check_numerics_s.private_seg_size, 0
	.set _ZL49rocblas_check_numerics_sym_herm_tri_matrix_kernelILi16ELi16EPKPK19rocblas_complex_numIdEEvbiT1_lllP24rocblas_check_numerics_s.uses_vcc, 1
	.set _ZL49rocblas_check_numerics_sym_herm_tri_matrix_kernelILi16ELi16EPKPK19rocblas_complex_numIdEEvbiT1_lllP24rocblas_check_numerics_s.uses_flat_scratch, 0
	.set _ZL49rocblas_check_numerics_sym_herm_tri_matrix_kernelILi16ELi16EPKPK19rocblas_complex_numIdEEvbiT1_lllP24rocblas_check_numerics_s.has_dyn_sized_stack, 0
	.set _ZL49rocblas_check_numerics_sym_herm_tri_matrix_kernelILi16ELi16EPKPK19rocblas_complex_numIdEEvbiT1_lllP24rocblas_check_numerics_s.has_recursion, 0
	.set _ZL49rocblas_check_numerics_sym_herm_tri_matrix_kernelILi16ELi16EPKPK19rocblas_complex_numIdEEvbiT1_lllP24rocblas_check_numerics_s.has_indirect_call, 0
	.section	.AMDGPU.csdata,"",@progbits
; Kernel info:
; codeLenInByte = 848
; TotalNumSgprs: 14
; NumVgprs: 7
; ScratchSize: 0
; MemoryBound: 0
; FloatMode: 240
; IeeeMode: 1
; LDSByteSize: 0 bytes/workgroup (compile time only)
; SGPRBlocks: 0
; VGPRBlocks: 0
; NumSGPRsForWavesPerEU: 14
; NumVGPRsForWavesPerEU: 7
; NamedBarCnt: 0
; Occupancy: 16
; WaveLimiterHint : 1
; COMPUTE_PGM_RSRC2:SCRATCH_EN: 0
; COMPUTE_PGM_RSRC2:USER_SGPR: 2
; COMPUTE_PGM_RSRC2:TRAP_HANDLER: 0
; COMPUTE_PGM_RSRC2:TGID_X_EN: 1
; COMPUTE_PGM_RSRC2:TGID_Y_EN: 1
; COMPUTE_PGM_RSRC2:TGID_Z_EN: 1
; COMPUTE_PGM_RSRC2:TIDIG_COMP_CNT: 1
	.section	.text._ZL39rocblas_check_numerics_ge_matrix_kernelILi16ELi16EPDF16_EviiT1_lllP24rocblas_check_numerics_s,"axG",@progbits,_ZL39rocblas_check_numerics_ge_matrix_kernelILi16ELi16EPDF16_EviiT1_lllP24rocblas_check_numerics_s,comdat
	.globl	_ZL39rocblas_check_numerics_ge_matrix_kernelILi16ELi16EPDF16_EviiT1_lllP24rocblas_check_numerics_s ; -- Begin function _ZL39rocblas_check_numerics_ge_matrix_kernelILi16ELi16EPDF16_EviiT1_lllP24rocblas_check_numerics_s
	.p2align	8
	.type	_ZL39rocblas_check_numerics_ge_matrix_kernelILi16ELi16EPDF16_EviiT1_lllP24rocblas_check_numerics_s,@function
_ZL39rocblas_check_numerics_ge_matrix_kernelILi16ELi16EPDF16_EviiT1_lllP24rocblas_check_numerics_s: ; @_ZL39rocblas_check_numerics_ge_matrix_kernelILi16ELi16EPDF16_EviiT1_lllP24rocblas_check_numerics_s
; %bb.0:
	s_clause 0x1
	s_load_b32 s4, s[0:1], 0x3c
	s_load_b64 s[2:3], s[0:1], 0x0
	s_bfe_u32 s6, ttmp6, 0x40010
	s_bfe_u32 s9, ttmp6, 0x4000c
	s_and_b32 s5, ttmp7, 0xffff
	s_add_co_i32 s6, s6, 1
	s_add_co_i32 s9, s9, 1
	s_bfe_u32 s7, ttmp6, 0x40004
	s_and_b32 s8, ttmp6, 15
	s_mul_i32 s6, s5, s6
	s_mul_i32 s9, ttmp9, s9
	s_getreg_b32 s12, hwreg(HW_REG_IB_STS2, 6, 4)
	v_and_b32_e32 v1, 0x3ff, v0
	v_bfe_u32 v2, v0, 10, 10
	s_add_co_i32 s7, s7, s6
	s_add_co_i32 s8, s8, s9
	s_mov_b32 s13, 0
	s_wait_kmcnt 0x0
	s_lshr_b32 s6, s4, 16
	s_and_b32 s4, s4, 0xffff
	s_cmp_eq_u32 s12, 0
	s_cselect_b32 s8, ttmp9, s8
	s_cselect_b32 s5, s5, s7
	v_mad_u32 v0, s8, s4, v1
	v_mad_u32 v2, s5, s6, v2
	s_delay_alu instid0(VALU_DEP_2) | instskip(NEXT) | instid1(VALU_DEP_2)
	v_cmp_gt_i32_e32 vcc_lo, s2, v0
	v_cmp_gt_i32_e64 s2, s3, v2
	s_and_b32 s2, vcc_lo, s2
	s_delay_alu instid0(SALU_CYCLE_1)
	s_and_saveexec_b32 s3, s2
	s_cbranch_execz .LBB32_12
; %bb.1:
	s_load_b256 s[4:11], s[0:1], 0x8
	v_ashrrev_i32_e32 v3, 31, v2
	s_bfe_u32 s2, ttmp6, 0x40014
	v_ashrrev_i32_e32 v1, 31, v0
	s_wait_kmcnt 0x0
	s_delay_alu instid0(VALU_DEP_2)
	v_mul_u64_e32 v[4:5], s[8:9], v[2:3]
	s_lshr_b32 s8, ttmp7, 16
	s_add_co_i32 s9, s2, 1
	s_load_b64 s[2:3], s[0:1], 0x28
	s_wait_xcnt 0x0
	s_mul_i32 s0, s8, s9
	s_bfe_u32 s1, ttmp6, 0x40008
	v_mov_b32_e32 v2, 0
	s_add_co_i32 s1, s1, s0
	s_cmp_eq_u32 s12, 0
	s_cselect_b32 s12, s8, s1
	s_delay_alu instid0(SALU_CYCLE_1) | instskip(NEXT) | instid1(SALU_CYCLE_1)
	s_mul_u64 s[0:1], s[10:11], s[12:13]
	s_lshl_b64 s[0:1], s[0:1], 1
	s_delay_alu instid0(SALU_CYCLE_1) | instskip(SKIP_1) | instid1(SALU_CYCLE_1)
	s_add_nc_u64 s[0:1], s[4:5], s[0:1]
	s_lshl_b64 s[4:5], s[6:7], 1
	s_add_nc_u64 s[0:1], s[0:1], s[4:5]
	s_wait_kmcnt 0x0
	global_load_u8 v3, v2, s[2:3] offset:1
	v_lshl_add_u64 v[4:5], v[4:5], 1, s[0:1]
	s_delay_alu instid0(VALU_DEP_1)
	v_lshl_add_u64 v[0:1], v[0:1], 1, v[4:5]
	global_load_u16 v0, v[0:1], off
	s_wait_loadcnt 0x1
	v_readfirstlane_b32 s0, v3
	s_bitcmp1_b32 s0, 0
	s_cselect_b32 s0, -1, 0
	s_delay_alu instid0(SALU_CYCLE_1) | instskip(SKIP_3) | instid1(SALU_CYCLE_1)
	s_xor_b32 s0, s0, -1
	s_wait_loadcnt 0x0
	v_cmp_eq_f16_e32 vcc_lo, 0, v0
	s_and_b32 s1, s0, vcc_lo
	s_and_saveexec_b32 s0, s1
	s_cbranch_execz .LBB32_3
; %bb.2:
	v_mov_b32_e32 v1, 1
	global_store_b8 v2, v1, s[2:3] offset:1
.LBB32_3:
	s_wait_xcnt 0x0
	s_or_b32 exec_lo, exec_lo, s0
	global_load_u8 v1, v2, s[2:3]
	s_wait_loadcnt 0x0
	v_and_b32_e32 v1, 1, v1
	s_delay_alu instid0(VALU_DEP_1)
	v_cmp_eq_u32_e32 vcc_lo, 1, v1
	s_cbranch_vccnz .LBB32_7
; %bb.4:
	v_and_b32_e32 v1, 0xffff, v0
	s_wait_xcnt 0x0
	s_delay_alu instid0(VALU_DEP_1) | instskip(SKIP_1) | instid1(VALU_DEP_2)
	v_and_b32_e32 v2, 0x7c00, v1
	v_and_b32_e32 v1, 0x3ff, v1
	v_cmp_eq_u32_e32 vcc_lo, 0x7c00, v2
	s_delay_alu instid0(VALU_DEP_2) | instskip(SKIP_1) | instid1(SALU_CYCLE_1)
	v_cmp_ne_u32_e64 s0, 0, v1
	s_and_b32 s1, vcc_lo, s0
	s_and_saveexec_b32 s0, s1
	s_cbranch_execz .LBB32_6
; %bb.5:
	v_dual_mov_b32 v1, 0 :: v_dual_mov_b32 v2, 1
	global_store_b8 v1, v2, s[2:3]
.LBB32_6:
	s_wait_xcnt 0x0
	s_or_b32 exec_lo, exec_lo, s0
.LBB32_7:
	v_mov_b32_e32 v1, 0
	global_load_u8 v2, v1, s[2:3] offset:2
	s_wait_loadcnt 0x0
	v_readfirstlane_b32 s0, v2
	s_bitcmp1_b32 s0, 0
	v_cmp_class_f16_e64 s0, v0, 0x204
	s_cselect_b32 s1, -1, 0
	s_delay_alu instid0(SALU_CYCLE_1) | instskip(NEXT) | instid1(SALU_CYCLE_1)
	s_xor_b32 s1, s1, -1
	s_and_b32 s1, s1, s0
	s_wait_xcnt 0x0
	s_and_saveexec_b32 s0, s1
	s_cbranch_execz .LBB32_9
; %bb.8:
	v_mov_b32_e32 v2, 1
	global_store_b8 v1, v2, s[2:3] offset:2
.LBB32_9:
	s_wait_xcnt 0x0
	s_or_b32 exec_lo, exec_lo, s0
	global_load_u8 v1, v1, s[2:3] offset:3
	s_wait_loadcnt 0x0
	v_and_b32_e32 v1, 1, v1
	s_delay_alu instid0(VALU_DEP_1)
	v_cmp_eq_u32_e32 vcc_lo, 1, v1
	s_cbranch_vccnz .LBB32_12
; %bb.10:
	v_and_b32_e32 v0, 0x7fff, v0
	s_delay_alu instid0(VALU_DEP_1) | instskip(NEXT) | instid1(VALU_DEP_1)
	v_add_nc_u16 v0, v0, -1
	v_cmp_gt_u16_e32 vcc_lo, 0x3ff, v0
	s_and_b32 exec_lo, exec_lo, vcc_lo
	s_cbranch_execz .LBB32_12
; %bb.11:
	v_dual_mov_b32 v0, 0 :: v_dual_mov_b32 v1, 1
	global_store_b8 v0, v1, s[2:3] offset:3
.LBB32_12:
	s_endpgm
	.section	.rodata,"a",@progbits
	.p2align	6, 0x0
	.amdhsa_kernel _ZL39rocblas_check_numerics_ge_matrix_kernelILi16ELi16EPDF16_EviiT1_lllP24rocblas_check_numerics_s
		.amdhsa_group_segment_fixed_size 0
		.amdhsa_private_segment_fixed_size 0
		.amdhsa_kernarg_size 304
		.amdhsa_user_sgpr_count 2
		.amdhsa_user_sgpr_dispatch_ptr 0
		.amdhsa_user_sgpr_queue_ptr 0
		.amdhsa_user_sgpr_kernarg_segment_ptr 1
		.amdhsa_user_sgpr_dispatch_id 0
		.amdhsa_user_sgpr_kernarg_preload_length 0
		.amdhsa_user_sgpr_kernarg_preload_offset 0
		.amdhsa_user_sgpr_private_segment_size 0
		.amdhsa_wavefront_size32 1
		.amdhsa_uses_dynamic_stack 0
		.amdhsa_enable_private_segment 0
		.amdhsa_system_sgpr_workgroup_id_x 1
		.amdhsa_system_sgpr_workgroup_id_y 1
		.amdhsa_system_sgpr_workgroup_id_z 1
		.amdhsa_system_sgpr_workgroup_info 0
		.amdhsa_system_vgpr_workitem_id 1
		.amdhsa_next_free_vgpr 6
		.amdhsa_next_free_sgpr 14
		.amdhsa_named_barrier_count 0
		.amdhsa_reserve_vcc 1
		.amdhsa_float_round_mode_32 0
		.amdhsa_float_round_mode_16_64 0
		.amdhsa_float_denorm_mode_32 3
		.amdhsa_float_denorm_mode_16_64 3
		.amdhsa_fp16_overflow 0
		.amdhsa_memory_ordered 1
		.amdhsa_forward_progress 1
		.amdhsa_inst_pref_size 6
		.amdhsa_round_robin_scheduling 0
		.amdhsa_exception_fp_ieee_invalid_op 0
		.amdhsa_exception_fp_denorm_src 0
		.amdhsa_exception_fp_ieee_div_zero 0
		.amdhsa_exception_fp_ieee_overflow 0
		.amdhsa_exception_fp_ieee_underflow 0
		.amdhsa_exception_fp_ieee_inexact 0
		.amdhsa_exception_int_div_zero 0
	.end_amdhsa_kernel
	.section	.text._ZL39rocblas_check_numerics_ge_matrix_kernelILi16ELi16EPDF16_EviiT1_lllP24rocblas_check_numerics_s,"axG",@progbits,_ZL39rocblas_check_numerics_ge_matrix_kernelILi16ELi16EPDF16_EviiT1_lllP24rocblas_check_numerics_s,comdat
.Lfunc_end32:
	.size	_ZL39rocblas_check_numerics_ge_matrix_kernelILi16ELi16EPDF16_EviiT1_lllP24rocblas_check_numerics_s, .Lfunc_end32-_ZL39rocblas_check_numerics_ge_matrix_kernelILi16ELi16EPDF16_EviiT1_lllP24rocblas_check_numerics_s
                                        ; -- End function
	.set _ZL39rocblas_check_numerics_ge_matrix_kernelILi16ELi16EPDF16_EviiT1_lllP24rocblas_check_numerics_s.num_vgpr, 6
	.set _ZL39rocblas_check_numerics_ge_matrix_kernelILi16ELi16EPDF16_EviiT1_lllP24rocblas_check_numerics_s.num_agpr, 0
	.set _ZL39rocblas_check_numerics_ge_matrix_kernelILi16ELi16EPDF16_EviiT1_lllP24rocblas_check_numerics_s.numbered_sgpr, 14
	.set _ZL39rocblas_check_numerics_ge_matrix_kernelILi16ELi16EPDF16_EviiT1_lllP24rocblas_check_numerics_s.num_named_barrier, 0
	.set _ZL39rocblas_check_numerics_ge_matrix_kernelILi16ELi16EPDF16_EviiT1_lllP24rocblas_check_numerics_s.private_seg_size, 0
	.set _ZL39rocblas_check_numerics_ge_matrix_kernelILi16ELi16EPDF16_EviiT1_lllP24rocblas_check_numerics_s.uses_vcc, 1
	.set _ZL39rocblas_check_numerics_ge_matrix_kernelILi16ELi16EPDF16_EviiT1_lllP24rocblas_check_numerics_s.uses_flat_scratch, 0
	.set _ZL39rocblas_check_numerics_ge_matrix_kernelILi16ELi16EPDF16_EviiT1_lllP24rocblas_check_numerics_s.has_dyn_sized_stack, 0
	.set _ZL39rocblas_check_numerics_ge_matrix_kernelILi16ELi16EPDF16_EviiT1_lllP24rocblas_check_numerics_s.has_recursion, 0
	.set _ZL39rocblas_check_numerics_ge_matrix_kernelILi16ELi16EPDF16_EviiT1_lllP24rocblas_check_numerics_s.has_indirect_call, 0
	.section	.AMDGPU.csdata,"",@progbits
; Kernel info:
; codeLenInByte = 716
; TotalNumSgprs: 16
; NumVgprs: 6
; ScratchSize: 0
; MemoryBound: 0
; FloatMode: 240
; IeeeMode: 1
; LDSByteSize: 0 bytes/workgroup (compile time only)
; SGPRBlocks: 0
; VGPRBlocks: 0
; NumSGPRsForWavesPerEU: 16
; NumVGPRsForWavesPerEU: 6
; NamedBarCnt: 0
; Occupancy: 16
; WaveLimiterHint : 0
; COMPUTE_PGM_RSRC2:SCRATCH_EN: 0
; COMPUTE_PGM_RSRC2:USER_SGPR: 2
; COMPUTE_PGM_RSRC2:TRAP_HANDLER: 0
; COMPUTE_PGM_RSRC2:TGID_X_EN: 1
; COMPUTE_PGM_RSRC2:TGID_Y_EN: 1
; COMPUTE_PGM_RSRC2:TGID_Z_EN: 1
; COMPUTE_PGM_RSRC2:TIDIG_COMP_CNT: 1
	.section	.text._ZL49rocblas_check_numerics_sym_herm_tri_matrix_kernelILi16ELi16EPDF16_EvbiT1_lllP24rocblas_check_numerics_s,"axG",@progbits,_ZL49rocblas_check_numerics_sym_herm_tri_matrix_kernelILi16ELi16EPDF16_EvbiT1_lllP24rocblas_check_numerics_s,comdat
	.globl	_ZL49rocblas_check_numerics_sym_herm_tri_matrix_kernelILi16ELi16EPDF16_EvbiT1_lllP24rocblas_check_numerics_s ; -- Begin function _ZL49rocblas_check_numerics_sym_herm_tri_matrix_kernelILi16ELi16EPDF16_EvbiT1_lllP24rocblas_check_numerics_s
	.p2align	8
	.type	_ZL49rocblas_check_numerics_sym_herm_tri_matrix_kernelILi16ELi16EPDF16_EvbiT1_lllP24rocblas_check_numerics_s,@function
_ZL49rocblas_check_numerics_sym_herm_tri_matrix_kernelILi16ELi16EPDF16_EvbiT1_lllP24rocblas_check_numerics_s: ; @_ZL49rocblas_check_numerics_sym_herm_tri_matrix_kernelILi16ELi16EPDF16_EvbiT1_lllP24rocblas_check_numerics_s
; %bb.0:
	s_clause 0x1
	s_load_b64 s[2:3], s[0:1], 0x0
	s_load_b32 s4, s[0:1], 0x3c
	s_bfe_u32 s6, ttmp6, 0x4000c
	s_bfe_u32 s8, ttmp6, 0x40010
	s_and_b32 s7, ttmp7, 0xffff
	s_add_co_i32 s6, s6, 1
	s_add_co_i32 s8, s8, 1
	s_and_b32 s5, ttmp6, 15
	s_bfe_u32 s9, ttmp6, 0x40004
	s_mul_i32 s6, ttmp9, s6
	s_mul_i32 s8, s7, s8
	s_getreg_b32 s12, hwreg(HW_REG_IB_STS2, 6, 4)
	v_and_b32_e32 v1, 0x3ff, v0
	v_bfe_u32 v2, v0, 10, 10
	s_add_co_i32 s5, s5, s6
	s_add_co_i32 s9, s9, s8
	s_wait_kmcnt 0x0
	s_and_b32 s2, s2, 1
	s_lshr_b32 s6, s4, 16
	s_and_b32 s4, s4, 0xffff
	s_cmp_eq_u32 s12, 0
	s_cselect_b32 s5, ttmp9, s5
	s_cselect_b32 s7, s7, s9
	v_mad_u32 v0, s5, s4, v1
	v_mad_u32 v2, s7, s6, v2
	s_mov_b32 s4, 0
	s_cmp_eq_u32 s2, 0
	s_mov_b32 s2, -1
	s_cbranch_scc1 .LBB33_4
; %bb.1:
	s_and_not1_b32 vcc_lo, exec_lo, s2
	s_cbranch_vccz .LBB33_5
.LBB33_2:
	s_and_saveexec_b32 s2, s4
	s_cbranch_execnz .LBB33_6
.LBB33_3:
	s_endpgm
.LBB33_4:
	s_delay_alu instid0(VALU_DEP_2) | instskip(NEXT) | instid1(VALU_DEP_2)
	v_cmp_gt_i32_e32 vcc_lo, s3, v0
	v_cmp_le_i32_e64 s2, v2, v0
	s_and_b32 s4, vcc_lo, s2
	s_delay_alu instid0(SALU_CYCLE_1)
	s_and_b32 s4, s4, exec_lo
	s_cbranch_execnz .LBB33_2
.LBB33_5:
	s_delay_alu instid0(VALU_DEP_1) | instskip(NEXT) | instid1(VALU_DEP_3)
	v_cmp_gt_i32_e32 vcc_lo, s3, v2
	v_cmp_le_i32_e64 s2, v0, v2
	s_and_not1_b32 s3, s4, exec_lo
	s_and_b32 s2, vcc_lo, s2
	s_delay_alu instid0(SALU_CYCLE_1) | instskip(NEXT) | instid1(SALU_CYCLE_1)
	s_and_b32 s2, s2, exec_lo
	s_or_b32 s4, s3, s2
	s_delay_alu instid0(SALU_CYCLE_1)
	s_and_saveexec_b32 s2, s4
	s_cbranch_execz .LBB33_3
.LBB33_6:
	s_load_b256 s[4:11], s[0:1], 0x8
	s_delay_alu instid0(VALU_DEP_1) | instskip(SKIP_3) | instid1(VALU_DEP_2)
	v_ashrrev_i32_e32 v3, 31, v2
	s_bfe_u32 s2, ttmp6, 0x40014
	v_ashrrev_i32_e32 v1, 31, v0
	s_wait_kmcnt 0x0
	v_mul_u64_e32 v[4:5], s[8:9], v[2:3]
	s_lshr_b32 s8, ttmp7, 16
	s_add_co_i32 s9, s2, 1
	s_load_b64 s[2:3], s[0:1], 0x28
	s_wait_xcnt 0x0
	s_mul_i32 s0, s8, s9
	s_bfe_u32 s1, ttmp6, 0x40008
	v_mov_b32_e32 v2, 0
	s_add_co_i32 s0, s1, s0
	s_cmp_eq_u32 s12, 0
	s_mov_b32 s1, 0
	s_cselect_b32 s0, s8, s0
	s_delay_alu instid0(SALU_CYCLE_1) | instskip(NEXT) | instid1(SALU_CYCLE_1)
	s_mul_u64 s[0:1], s[10:11], s[0:1]
	s_lshl_b64 s[0:1], s[0:1], 1
	s_delay_alu instid0(SALU_CYCLE_1) | instskip(SKIP_1) | instid1(SALU_CYCLE_1)
	s_add_nc_u64 s[0:1], s[4:5], s[0:1]
	s_lshl_b64 s[4:5], s[6:7], 1
	s_add_nc_u64 s[0:1], s[0:1], s[4:5]
	s_wait_kmcnt 0x0
	global_load_u8 v3, v2, s[2:3] offset:1
	v_lshl_add_u64 v[4:5], v[4:5], 1, s[0:1]
	s_delay_alu instid0(VALU_DEP_1)
	v_lshl_add_u64 v[0:1], v[0:1], 1, v[4:5]
	global_load_u16 v0, v[0:1], off
	s_wait_loadcnt 0x1
	v_readfirstlane_b32 s0, v3
	s_bitcmp1_b32 s0, 0
	s_cselect_b32 s0, -1, 0
	s_delay_alu instid0(SALU_CYCLE_1) | instskip(SKIP_3) | instid1(SALU_CYCLE_1)
	s_xor_b32 s0, s0, -1
	s_wait_loadcnt 0x0
	v_cmp_eq_f16_e32 vcc_lo, 0, v0
	s_and_b32 s1, s0, vcc_lo
	s_and_saveexec_b32 s0, s1
	s_cbranch_execz .LBB33_8
; %bb.7:
	v_mov_b32_e32 v1, 1
	global_store_b8 v2, v1, s[2:3] offset:1
.LBB33_8:
	s_wait_xcnt 0x0
	s_or_b32 exec_lo, exec_lo, s0
	global_load_u8 v1, v2, s[2:3]
	s_wait_loadcnt 0x0
	v_and_b32_e32 v1, 1, v1
	s_delay_alu instid0(VALU_DEP_1)
	v_cmp_eq_u32_e32 vcc_lo, 1, v1
	s_cbranch_vccnz .LBB33_12
; %bb.9:
	v_and_b32_e32 v1, 0xffff, v0
	s_wait_xcnt 0x0
	s_delay_alu instid0(VALU_DEP_1) | instskip(SKIP_1) | instid1(VALU_DEP_2)
	v_and_b32_e32 v2, 0x7c00, v1
	v_and_b32_e32 v1, 0x3ff, v1
	v_cmp_eq_u32_e32 vcc_lo, 0x7c00, v2
	s_delay_alu instid0(VALU_DEP_2) | instskip(SKIP_1) | instid1(SALU_CYCLE_1)
	v_cmp_ne_u32_e64 s0, 0, v1
	s_and_b32 s1, vcc_lo, s0
	s_and_saveexec_b32 s0, s1
	s_cbranch_execz .LBB33_11
; %bb.10:
	v_dual_mov_b32 v1, 0 :: v_dual_mov_b32 v2, 1
	global_store_b8 v1, v2, s[2:3]
.LBB33_11:
	s_wait_xcnt 0x0
	s_or_b32 exec_lo, exec_lo, s0
.LBB33_12:
	v_mov_b32_e32 v1, 0
	global_load_u8 v2, v1, s[2:3] offset:2
	s_wait_loadcnt 0x0
	v_readfirstlane_b32 s0, v2
	s_bitcmp1_b32 s0, 0
	v_cmp_class_f16_e64 s0, v0, 0x204
	s_cselect_b32 s1, -1, 0
	s_delay_alu instid0(SALU_CYCLE_1) | instskip(NEXT) | instid1(SALU_CYCLE_1)
	s_xor_b32 s1, s1, -1
	s_and_b32 s1, s1, s0
	s_wait_xcnt 0x0
	s_and_saveexec_b32 s0, s1
	s_cbranch_execz .LBB33_14
; %bb.13:
	v_mov_b32_e32 v2, 1
	global_store_b8 v1, v2, s[2:3] offset:2
.LBB33_14:
	s_wait_xcnt 0x0
	s_or_b32 exec_lo, exec_lo, s0
	global_load_u8 v1, v1, s[2:3] offset:3
	s_wait_loadcnt 0x0
	v_and_b32_e32 v1, 1, v1
	s_delay_alu instid0(VALU_DEP_1)
	v_cmp_eq_u32_e32 vcc_lo, 1, v1
	s_cbranch_vccnz .LBB33_3
; %bb.15:
	v_and_b32_e32 v0, 0x7fff, v0
	s_delay_alu instid0(VALU_DEP_1) | instskip(NEXT) | instid1(VALU_DEP_1)
	v_add_nc_u16 v0, v0, -1
	v_cmp_gt_u16_e32 vcc_lo, 0x3ff, v0
	s_and_b32 exec_lo, exec_lo, vcc_lo
	s_cbranch_execz .LBB33_3
; %bb.16:
	v_dual_mov_b32 v0, 0 :: v_dual_mov_b32 v1, 1
	global_store_b8 v0, v1, s[2:3] offset:3
	s_endpgm
	.section	.rodata,"a",@progbits
	.p2align	6, 0x0
	.amdhsa_kernel _ZL49rocblas_check_numerics_sym_herm_tri_matrix_kernelILi16ELi16EPDF16_EvbiT1_lllP24rocblas_check_numerics_s
		.amdhsa_group_segment_fixed_size 0
		.amdhsa_private_segment_fixed_size 0
		.amdhsa_kernarg_size 304
		.amdhsa_user_sgpr_count 2
		.amdhsa_user_sgpr_dispatch_ptr 0
		.amdhsa_user_sgpr_queue_ptr 0
		.amdhsa_user_sgpr_kernarg_segment_ptr 1
		.amdhsa_user_sgpr_dispatch_id 0
		.amdhsa_user_sgpr_kernarg_preload_length 0
		.amdhsa_user_sgpr_kernarg_preload_offset 0
		.amdhsa_user_sgpr_private_segment_size 0
		.amdhsa_wavefront_size32 1
		.amdhsa_uses_dynamic_stack 0
		.amdhsa_enable_private_segment 0
		.amdhsa_system_sgpr_workgroup_id_x 1
		.amdhsa_system_sgpr_workgroup_id_y 1
		.amdhsa_system_sgpr_workgroup_id_z 1
		.amdhsa_system_sgpr_workgroup_info 0
		.amdhsa_system_vgpr_workitem_id 1
		.amdhsa_next_free_vgpr 6
		.amdhsa_next_free_sgpr 13
		.amdhsa_named_barrier_count 0
		.amdhsa_reserve_vcc 1
		.amdhsa_float_round_mode_32 0
		.amdhsa_float_round_mode_16_64 0
		.amdhsa_float_denorm_mode_32 3
		.amdhsa_float_denorm_mode_16_64 3
		.amdhsa_fp16_overflow 0
		.amdhsa_memory_ordered 1
		.amdhsa_forward_progress 1
		.amdhsa_inst_pref_size 7
		.amdhsa_round_robin_scheduling 0
		.amdhsa_exception_fp_ieee_invalid_op 0
		.amdhsa_exception_fp_denorm_src 0
		.amdhsa_exception_fp_ieee_div_zero 0
		.amdhsa_exception_fp_ieee_overflow 0
		.amdhsa_exception_fp_ieee_underflow 0
		.amdhsa_exception_fp_ieee_inexact 0
		.amdhsa_exception_int_div_zero 0
	.end_amdhsa_kernel
	.section	.text._ZL49rocblas_check_numerics_sym_herm_tri_matrix_kernelILi16ELi16EPDF16_EvbiT1_lllP24rocblas_check_numerics_s,"axG",@progbits,_ZL49rocblas_check_numerics_sym_herm_tri_matrix_kernelILi16ELi16EPDF16_EvbiT1_lllP24rocblas_check_numerics_s,comdat
.Lfunc_end33:
	.size	_ZL49rocblas_check_numerics_sym_herm_tri_matrix_kernelILi16ELi16EPDF16_EvbiT1_lllP24rocblas_check_numerics_s, .Lfunc_end33-_ZL49rocblas_check_numerics_sym_herm_tri_matrix_kernelILi16ELi16EPDF16_EvbiT1_lllP24rocblas_check_numerics_s
                                        ; -- End function
	.set _ZL49rocblas_check_numerics_sym_herm_tri_matrix_kernelILi16ELi16EPDF16_EvbiT1_lllP24rocblas_check_numerics_s.num_vgpr, 6
	.set _ZL49rocblas_check_numerics_sym_herm_tri_matrix_kernelILi16ELi16EPDF16_EvbiT1_lllP24rocblas_check_numerics_s.num_agpr, 0
	.set _ZL49rocblas_check_numerics_sym_herm_tri_matrix_kernelILi16ELi16EPDF16_EvbiT1_lllP24rocblas_check_numerics_s.numbered_sgpr, 13
	.set _ZL49rocblas_check_numerics_sym_herm_tri_matrix_kernelILi16ELi16EPDF16_EvbiT1_lllP24rocblas_check_numerics_s.num_named_barrier, 0
	.set _ZL49rocblas_check_numerics_sym_herm_tri_matrix_kernelILi16ELi16EPDF16_EvbiT1_lllP24rocblas_check_numerics_s.private_seg_size, 0
	.set _ZL49rocblas_check_numerics_sym_herm_tri_matrix_kernelILi16ELi16EPDF16_EvbiT1_lllP24rocblas_check_numerics_s.uses_vcc, 1
	.set _ZL49rocblas_check_numerics_sym_herm_tri_matrix_kernelILi16ELi16EPDF16_EvbiT1_lllP24rocblas_check_numerics_s.uses_flat_scratch, 0
	.set _ZL49rocblas_check_numerics_sym_herm_tri_matrix_kernelILi16ELi16EPDF16_EvbiT1_lllP24rocblas_check_numerics_s.has_dyn_sized_stack, 0
	.set _ZL49rocblas_check_numerics_sym_herm_tri_matrix_kernelILi16ELi16EPDF16_EvbiT1_lllP24rocblas_check_numerics_s.has_recursion, 0
	.set _ZL49rocblas_check_numerics_sym_herm_tri_matrix_kernelILi16ELi16EPDF16_EvbiT1_lllP24rocblas_check_numerics_s.has_indirect_call, 0
	.section	.AMDGPU.csdata,"",@progbits
; Kernel info:
; codeLenInByte = 804
; TotalNumSgprs: 15
; NumVgprs: 6
; ScratchSize: 0
; MemoryBound: 0
; FloatMode: 240
; IeeeMode: 1
; LDSByteSize: 0 bytes/workgroup (compile time only)
; SGPRBlocks: 0
; VGPRBlocks: 0
; NumSGPRsForWavesPerEU: 15
; NumVGPRsForWavesPerEU: 6
; NamedBarCnt: 0
; Occupancy: 16
; WaveLimiterHint : 0
; COMPUTE_PGM_RSRC2:SCRATCH_EN: 0
; COMPUTE_PGM_RSRC2:USER_SGPR: 2
; COMPUTE_PGM_RSRC2:TRAP_HANDLER: 0
; COMPUTE_PGM_RSRC2:TGID_X_EN: 1
; COMPUTE_PGM_RSRC2:TGID_Y_EN: 1
; COMPUTE_PGM_RSRC2:TGID_Z_EN: 1
; COMPUTE_PGM_RSRC2:TIDIG_COMP_CNT: 1
	.section	.text._ZL39rocblas_check_numerics_ge_matrix_kernelILi16ELi16EPKPDF16_EviiT1_lllP24rocblas_check_numerics_s,"axG",@progbits,_ZL39rocblas_check_numerics_ge_matrix_kernelILi16ELi16EPKPDF16_EviiT1_lllP24rocblas_check_numerics_s,comdat
	.globl	_ZL39rocblas_check_numerics_ge_matrix_kernelILi16ELi16EPKPDF16_EviiT1_lllP24rocblas_check_numerics_s ; -- Begin function _ZL39rocblas_check_numerics_ge_matrix_kernelILi16ELi16EPKPDF16_EviiT1_lllP24rocblas_check_numerics_s
	.p2align	8
	.type	_ZL39rocblas_check_numerics_ge_matrix_kernelILi16ELi16EPKPDF16_EviiT1_lllP24rocblas_check_numerics_s,@function
_ZL39rocblas_check_numerics_ge_matrix_kernelILi16ELi16EPKPDF16_EviiT1_lllP24rocblas_check_numerics_s: ; @_ZL39rocblas_check_numerics_ge_matrix_kernelILi16ELi16EPKPDF16_EviiT1_lllP24rocblas_check_numerics_s
; %bb.0:
	s_clause 0x1
	s_load_b32 s2, s[0:1], 0x3c
	s_load_b64 s[4:5], s[0:1], 0x0
	s_bfe_u32 s7, ttmp6, 0x40010
	s_bfe_u32 s10, ttmp6, 0x4000c
	s_and_b32 s6, ttmp7, 0xffff
	s_add_co_i32 s7, s7, 1
	s_add_co_i32 s10, s10, 1
	s_bfe_u32 s8, ttmp6, 0x40004
	s_and_b32 s9, ttmp6, 15
	s_mul_i32 s7, s6, s7
	s_mul_i32 s10, ttmp9, s10
	s_getreg_b32 s3, hwreg(HW_REG_IB_STS2, 6, 4)
	v_and_b32_e32 v1, 0x3ff, v0
	v_bfe_u32 v2, v0, 10, 10
	s_add_co_i32 s8, s8, s7
	s_add_co_i32 s9, s9, s10
	s_wait_kmcnt 0x0
	s_lshr_b32 s7, s2, 16
	s_and_b32 s2, s2, 0xffff
	s_cmp_eq_u32 s3, 0
	s_cselect_b32 s9, ttmp9, s9
	s_cselect_b32 s6, s6, s8
	v_mad_u32 v0, s9, s2, v1
	v_mad_u32 v2, s6, s7, v2
	s_delay_alu instid0(VALU_DEP_2) | instskip(NEXT) | instid1(VALU_DEP_2)
	v_cmp_gt_i32_e32 vcc_lo, s4, v0
	v_cmp_gt_i32_e64 s2, s5, v2
	s_and_b32 s2, vcc_lo, s2
	s_delay_alu instid0(SALU_CYCLE_1)
	s_and_saveexec_b32 s4, s2
	s_cbranch_execz .LBB34_12
; %bb.1:
	s_clause 0x1
	s_load_b64 s[8:9], s[0:1], 0x18
	s_load_b128 s[4:7], s[0:1], 0x8
	v_ashrrev_i32_e32 v3, 31, v2
	s_bfe_u32 s2, ttmp6, 0x40014
	s_lshr_b32 s10, ttmp7, 16
	s_add_co_i32 s2, s2, 1
	v_ashrrev_i32_e32 v1, 31, v0
	s_mul_i32 s2, s10, s2
	s_wait_kmcnt 0x0
	v_mul_u64_e32 v[4:5], s[8:9], v[2:3]
	s_bfe_u32 s8, ttmp6, 0x40008
	v_mov_b32_e32 v2, 0
	s_add_co_i32 s8, s8, s2
	s_cmp_eq_u32 s3, 0
	s_cselect_b32 s10, s10, s8
	s_load_b64 s[8:9], s[4:5], s10 offset:0x0 scale_offset
	s_load_b64 s[2:3], s[0:1], 0x28
	s_wait_xcnt 0x0
	s_lshl_b64 s[0:1], s[6:7], 1
	s_wait_kmcnt 0x0
	s_add_nc_u64 s[0:1], s[8:9], s[0:1]
	global_load_u8 v3, v2, s[2:3] offset:1
	v_lshl_add_u64 v[4:5], v[4:5], 1, s[0:1]
	s_delay_alu instid0(VALU_DEP_1)
	v_lshl_add_u64 v[0:1], v[0:1], 1, v[4:5]
	flat_load_u16 v0, v[0:1]
	s_wait_loadcnt 0x1
	v_readfirstlane_b32 s0, v3
	s_bitcmp1_b32 s0, 0
	s_cselect_b32 s0, -1, 0
	s_delay_alu instid0(SALU_CYCLE_1) | instskip(SKIP_3) | instid1(SALU_CYCLE_1)
	s_xor_b32 s0, s0, -1
	s_wait_loadcnt_dscnt 0x0
	v_cmp_eq_f16_e32 vcc_lo, 0, v0
	s_and_b32 s1, s0, vcc_lo
	s_and_saveexec_b32 s0, s1
	s_cbranch_execz .LBB34_3
; %bb.2:
	v_mov_b32_e32 v1, 1
	global_store_b8 v2, v1, s[2:3] offset:1
.LBB34_3:
	s_wait_xcnt 0x0
	s_or_b32 exec_lo, exec_lo, s0
	global_load_u8 v1, v2, s[2:3]
	s_wait_loadcnt 0x0
	v_and_b32_e32 v1, 1, v1
	s_delay_alu instid0(VALU_DEP_1)
	v_cmp_eq_u32_e32 vcc_lo, 1, v1
	s_cbranch_vccnz .LBB34_7
; %bb.4:
	v_and_b32_e32 v1, 0xffff, v0
	s_wait_xcnt 0x0
	s_delay_alu instid0(VALU_DEP_1) | instskip(SKIP_1) | instid1(VALU_DEP_2)
	v_and_b32_e32 v2, 0x7c00, v1
	v_and_b32_e32 v1, 0x3ff, v1
	v_cmp_eq_u32_e32 vcc_lo, 0x7c00, v2
	s_delay_alu instid0(VALU_DEP_2) | instskip(SKIP_1) | instid1(SALU_CYCLE_1)
	v_cmp_ne_u32_e64 s0, 0, v1
	s_and_b32 s1, vcc_lo, s0
	s_and_saveexec_b32 s0, s1
	s_cbranch_execz .LBB34_6
; %bb.5:
	v_dual_mov_b32 v1, 0 :: v_dual_mov_b32 v2, 1
	global_store_b8 v1, v2, s[2:3]
.LBB34_6:
	s_wait_xcnt 0x0
	s_or_b32 exec_lo, exec_lo, s0
.LBB34_7:
	v_mov_b32_e32 v1, 0
	global_load_u8 v2, v1, s[2:3] offset:2
	s_wait_loadcnt 0x0
	v_readfirstlane_b32 s0, v2
	s_bitcmp1_b32 s0, 0
	v_cmp_class_f16_e64 s0, v0, 0x204
	s_cselect_b32 s1, -1, 0
	s_delay_alu instid0(SALU_CYCLE_1) | instskip(NEXT) | instid1(SALU_CYCLE_1)
	s_xor_b32 s1, s1, -1
	s_and_b32 s1, s1, s0
	s_wait_xcnt 0x0
	s_and_saveexec_b32 s0, s1
	s_cbranch_execz .LBB34_9
; %bb.8:
	v_mov_b32_e32 v2, 1
	global_store_b8 v1, v2, s[2:3] offset:2
.LBB34_9:
	s_wait_xcnt 0x0
	s_or_b32 exec_lo, exec_lo, s0
	global_load_u8 v1, v1, s[2:3] offset:3
	s_wait_loadcnt 0x0
	v_and_b32_e32 v1, 1, v1
	s_delay_alu instid0(VALU_DEP_1)
	v_cmp_eq_u32_e32 vcc_lo, 1, v1
	s_cbranch_vccnz .LBB34_12
; %bb.10:
	v_and_b32_e32 v0, 0x7fff, v0
	s_delay_alu instid0(VALU_DEP_1) | instskip(NEXT) | instid1(VALU_DEP_1)
	v_add_nc_u16 v0, v0, -1
	v_cmp_gt_u16_e32 vcc_lo, 0x3ff, v0
	s_and_b32 exec_lo, exec_lo, vcc_lo
	s_cbranch_execz .LBB34_12
; %bb.11:
	v_dual_mov_b32 v0, 0 :: v_dual_mov_b32 v1, 1
	global_store_b8 v0, v1, s[2:3] offset:3
.LBB34_12:
	s_endpgm
	.section	.rodata,"a",@progbits
	.p2align	6, 0x0
	.amdhsa_kernel _ZL39rocblas_check_numerics_ge_matrix_kernelILi16ELi16EPKPDF16_EviiT1_lllP24rocblas_check_numerics_s
		.amdhsa_group_segment_fixed_size 0
		.amdhsa_private_segment_fixed_size 0
		.amdhsa_kernarg_size 304
		.amdhsa_user_sgpr_count 2
		.amdhsa_user_sgpr_dispatch_ptr 0
		.amdhsa_user_sgpr_queue_ptr 0
		.amdhsa_user_sgpr_kernarg_segment_ptr 1
		.amdhsa_user_sgpr_dispatch_id 0
		.amdhsa_user_sgpr_kernarg_preload_length 0
		.amdhsa_user_sgpr_kernarg_preload_offset 0
		.amdhsa_user_sgpr_private_segment_size 0
		.amdhsa_wavefront_size32 1
		.amdhsa_uses_dynamic_stack 0
		.amdhsa_enable_private_segment 0
		.amdhsa_system_sgpr_workgroup_id_x 1
		.amdhsa_system_sgpr_workgroup_id_y 1
		.amdhsa_system_sgpr_workgroup_id_z 1
		.amdhsa_system_sgpr_workgroup_info 0
		.amdhsa_system_vgpr_workitem_id 1
		.amdhsa_next_free_vgpr 6
		.amdhsa_next_free_sgpr 11
		.amdhsa_named_barrier_count 0
		.amdhsa_reserve_vcc 1
		.amdhsa_float_round_mode_32 0
		.amdhsa_float_round_mode_16_64 0
		.amdhsa_float_denorm_mode_32 3
		.amdhsa_float_denorm_mode_16_64 3
		.amdhsa_fp16_overflow 0
		.amdhsa_memory_ordered 1
		.amdhsa_forward_progress 1
		.amdhsa_inst_pref_size 6
		.amdhsa_round_robin_scheduling 0
		.amdhsa_exception_fp_ieee_invalid_op 0
		.amdhsa_exception_fp_denorm_src 0
		.amdhsa_exception_fp_ieee_div_zero 0
		.amdhsa_exception_fp_ieee_overflow 0
		.amdhsa_exception_fp_ieee_underflow 0
		.amdhsa_exception_fp_ieee_inexact 0
		.amdhsa_exception_int_div_zero 0
	.end_amdhsa_kernel
	.section	.text._ZL39rocblas_check_numerics_ge_matrix_kernelILi16ELi16EPKPDF16_EviiT1_lllP24rocblas_check_numerics_s,"axG",@progbits,_ZL39rocblas_check_numerics_ge_matrix_kernelILi16ELi16EPKPDF16_EviiT1_lllP24rocblas_check_numerics_s,comdat
.Lfunc_end34:
	.size	_ZL39rocblas_check_numerics_ge_matrix_kernelILi16ELi16EPKPDF16_EviiT1_lllP24rocblas_check_numerics_s, .Lfunc_end34-_ZL39rocblas_check_numerics_ge_matrix_kernelILi16ELi16EPKPDF16_EviiT1_lllP24rocblas_check_numerics_s
                                        ; -- End function
	.set _ZL39rocblas_check_numerics_ge_matrix_kernelILi16ELi16EPKPDF16_EviiT1_lllP24rocblas_check_numerics_s.num_vgpr, 6
	.set _ZL39rocblas_check_numerics_ge_matrix_kernelILi16ELi16EPKPDF16_EviiT1_lllP24rocblas_check_numerics_s.num_agpr, 0
	.set _ZL39rocblas_check_numerics_ge_matrix_kernelILi16ELi16EPKPDF16_EviiT1_lllP24rocblas_check_numerics_s.numbered_sgpr, 11
	.set _ZL39rocblas_check_numerics_ge_matrix_kernelILi16ELi16EPKPDF16_EviiT1_lllP24rocblas_check_numerics_s.num_named_barrier, 0
	.set _ZL39rocblas_check_numerics_ge_matrix_kernelILi16ELi16EPKPDF16_EviiT1_lllP24rocblas_check_numerics_s.private_seg_size, 0
	.set _ZL39rocblas_check_numerics_ge_matrix_kernelILi16ELi16EPKPDF16_EviiT1_lllP24rocblas_check_numerics_s.uses_vcc, 1
	.set _ZL39rocblas_check_numerics_ge_matrix_kernelILi16ELi16EPKPDF16_EviiT1_lllP24rocblas_check_numerics_s.uses_flat_scratch, 0
	.set _ZL39rocblas_check_numerics_ge_matrix_kernelILi16ELi16EPKPDF16_EviiT1_lllP24rocblas_check_numerics_s.has_dyn_sized_stack, 0
	.set _ZL39rocblas_check_numerics_ge_matrix_kernelILi16ELi16EPKPDF16_EviiT1_lllP24rocblas_check_numerics_s.has_recursion, 0
	.set _ZL39rocblas_check_numerics_ge_matrix_kernelILi16ELi16EPKPDF16_EviiT1_lllP24rocblas_check_numerics_s.has_indirect_call, 0
	.section	.AMDGPU.csdata,"",@progbits
; Kernel info:
; codeLenInByte = 708
; TotalNumSgprs: 13
; NumVgprs: 6
; ScratchSize: 0
; MemoryBound: 0
; FloatMode: 240
; IeeeMode: 1
; LDSByteSize: 0 bytes/workgroup (compile time only)
; SGPRBlocks: 0
; VGPRBlocks: 0
; NumSGPRsForWavesPerEU: 13
; NumVGPRsForWavesPerEU: 6
; NamedBarCnt: 0
; Occupancy: 16
; WaveLimiterHint : 1
; COMPUTE_PGM_RSRC2:SCRATCH_EN: 0
; COMPUTE_PGM_RSRC2:USER_SGPR: 2
; COMPUTE_PGM_RSRC2:TRAP_HANDLER: 0
; COMPUTE_PGM_RSRC2:TGID_X_EN: 1
; COMPUTE_PGM_RSRC2:TGID_Y_EN: 1
; COMPUTE_PGM_RSRC2:TGID_Z_EN: 1
; COMPUTE_PGM_RSRC2:TIDIG_COMP_CNT: 1
	.section	.text._ZL49rocblas_check_numerics_sym_herm_tri_matrix_kernelILi16ELi16EPKPDF16_EvbiT1_lllP24rocblas_check_numerics_s,"axG",@progbits,_ZL49rocblas_check_numerics_sym_herm_tri_matrix_kernelILi16ELi16EPKPDF16_EvbiT1_lllP24rocblas_check_numerics_s,comdat
	.globl	_ZL49rocblas_check_numerics_sym_herm_tri_matrix_kernelILi16ELi16EPKPDF16_EvbiT1_lllP24rocblas_check_numerics_s ; -- Begin function _ZL49rocblas_check_numerics_sym_herm_tri_matrix_kernelILi16ELi16EPKPDF16_EvbiT1_lllP24rocblas_check_numerics_s
	.p2align	8
	.type	_ZL49rocblas_check_numerics_sym_herm_tri_matrix_kernelILi16ELi16EPKPDF16_EvbiT1_lllP24rocblas_check_numerics_s,@function
_ZL49rocblas_check_numerics_sym_herm_tri_matrix_kernelILi16ELi16EPKPDF16_EvbiT1_lllP24rocblas_check_numerics_s: ; @_ZL49rocblas_check_numerics_sym_herm_tri_matrix_kernelILi16ELi16EPKPDF16_EvbiT1_lllP24rocblas_check_numerics_s
; %bb.0:
	s_clause 0x1
	s_load_b64 s[2:3], s[0:1], 0x0
	s_load_b32 s5, s[0:1], 0x3c
	s_bfe_u32 s7, ttmp6, 0x4000c
	s_bfe_u32 s9, ttmp6, 0x40010
	s_and_b32 s8, ttmp7, 0xffff
	s_add_co_i32 s7, s7, 1
	s_add_co_i32 s9, s9, 1
	s_and_b32 s6, ttmp6, 15
	s_bfe_u32 s10, ttmp6, 0x40004
	s_mul_i32 s7, ttmp9, s7
	s_mul_i32 s9, s8, s9
	s_getreg_b32 s4, hwreg(HW_REG_IB_STS2, 6, 4)
	v_and_b32_e32 v1, 0x3ff, v0
	v_bfe_u32 v2, v0, 10, 10
	s_add_co_i32 s6, s6, s7
	s_add_co_i32 s10, s10, s9
	s_wait_kmcnt 0x0
	s_and_b32 s2, s2, 1
	s_lshr_b32 s7, s5, 16
	s_and_b32 s5, s5, 0xffff
	s_cmp_eq_u32 s4, 0
	s_cselect_b32 s6, ttmp9, s6
	s_cselect_b32 s8, s8, s10
	v_mad_u32 v0, s6, s5, v1
	v_mad_u32 v2, s8, s7, v2
	s_mov_b32 s5, 0
	s_cmp_eq_u32 s2, 0
	s_mov_b32 s2, -1
	s_cbranch_scc1 .LBB35_4
; %bb.1:
	s_and_not1_b32 vcc_lo, exec_lo, s2
	s_cbranch_vccz .LBB35_5
.LBB35_2:
	s_and_saveexec_b32 s2, s5
	s_cbranch_execnz .LBB35_6
.LBB35_3:
	s_endpgm
.LBB35_4:
	s_delay_alu instid0(VALU_DEP_2) | instskip(NEXT) | instid1(VALU_DEP_2)
	v_cmp_gt_i32_e32 vcc_lo, s3, v0
	v_cmp_le_i32_e64 s2, v2, v0
	s_and_b32 s5, vcc_lo, s2
	s_delay_alu instid0(SALU_CYCLE_1)
	s_and_b32 s5, s5, exec_lo
	s_cbranch_execnz .LBB35_2
.LBB35_5:
	s_delay_alu instid0(VALU_DEP_1) | instskip(NEXT) | instid1(VALU_DEP_3)
	v_cmp_gt_i32_e32 vcc_lo, s3, v2
	v_cmp_le_i32_e64 s2, v0, v2
	s_and_not1_b32 s3, s5, exec_lo
	s_and_b32 s2, vcc_lo, s2
	s_delay_alu instid0(SALU_CYCLE_1) | instskip(NEXT) | instid1(SALU_CYCLE_1)
	s_and_b32 s2, s2, exec_lo
	s_or_b32 s5, s3, s2
	s_delay_alu instid0(SALU_CYCLE_1)
	s_and_saveexec_b32 s2, s5
	s_cbranch_execz .LBB35_3
.LBB35_6:
	s_clause 0x1
	s_load_b64 s[2:3], s[0:1], 0x18
	s_load_b128 s[8:11], s[0:1], 0x8
	v_ashrrev_i32_e32 v3, 31, v2
	s_bfe_u32 s5, ttmp6, 0x40014
	s_lshr_b32 s6, ttmp7, 16
	s_add_co_i32 s5, s5, 1
	v_ashrrev_i32_e32 v1, 31, v0
	s_wait_kmcnt 0x0
	v_mul_u64_e32 v[4:5], s[2:3], v[2:3]
	s_mul_i32 s2, s6, s5
	s_bfe_u32 s3, ttmp6, 0x40008
	v_mov_b32_e32 v2, 0
	s_add_co_i32 s3, s3, s2
	s_cmp_eq_u32 s4, 0
	s_cselect_b32 s6, s6, s3
	s_load_b64 s[4:5], s[8:9], s6 offset:0x0 scale_offset
	s_load_b64 s[2:3], s[0:1], 0x28
	s_wait_xcnt 0x0
	s_lshl_b64 s[0:1], s[10:11], 1
	s_wait_kmcnt 0x0
	s_add_nc_u64 s[0:1], s[4:5], s[0:1]
	global_load_u8 v3, v2, s[2:3] offset:1
	v_lshl_add_u64 v[4:5], v[4:5], 1, s[0:1]
	s_delay_alu instid0(VALU_DEP_1)
	v_lshl_add_u64 v[0:1], v[0:1], 1, v[4:5]
	flat_load_u16 v0, v[0:1]
	s_wait_loadcnt 0x1
	v_readfirstlane_b32 s0, v3
	s_bitcmp1_b32 s0, 0
	s_cselect_b32 s0, -1, 0
	s_delay_alu instid0(SALU_CYCLE_1) | instskip(SKIP_3) | instid1(SALU_CYCLE_1)
	s_xor_b32 s0, s0, -1
	s_wait_loadcnt_dscnt 0x0
	v_cmp_eq_f16_e32 vcc_lo, 0, v0
	s_and_b32 s1, s0, vcc_lo
	s_and_saveexec_b32 s0, s1
	s_cbranch_execz .LBB35_8
; %bb.7:
	v_mov_b32_e32 v1, 1
	global_store_b8 v2, v1, s[2:3] offset:1
.LBB35_8:
	s_wait_xcnt 0x0
	s_or_b32 exec_lo, exec_lo, s0
	global_load_u8 v1, v2, s[2:3]
	s_wait_loadcnt 0x0
	v_and_b32_e32 v1, 1, v1
	s_delay_alu instid0(VALU_DEP_1)
	v_cmp_eq_u32_e32 vcc_lo, 1, v1
	s_cbranch_vccnz .LBB35_12
; %bb.9:
	v_and_b32_e32 v1, 0xffff, v0
	s_wait_xcnt 0x0
	s_delay_alu instid0(VALU_DEP_1) | instskip(SKIP_1) | instid1(VALU_DEP_2)
	v_and_b32_e32 v2, 0x7c00, v1
	v_and_b32_e32 v1, 0x3ff, v1
	v_cmp_eq_u32_e32 vcc_lo, 0x7c00, v2
	s_delay_alu instid0(VALU_DEP_2) | instskip(SKIP_1) | instid1(SALU_CYCLE_1)
	v_cmp_ne_u32_e64 s0, 0, v1
	s_and_b32 s1, vcc_lo, s0
	s_and_saveexec_b32 s0, s1
	s_cbranch_execz .LBB35_11
; %bb.10:
	v_dual_mov_b32 v1, 0 :: v_dual_mov_b32 v2, 1
	global_store_b8 v1, v2, s[2:3]
.LBB35_11:
	s_wait_xcnt 0x0
	s_or_b32 exec_lo, exec_lo, s0
.LBB35_12:
	v_mov_b32_e32 v1, 0
	global_load_u8 v2, v1, s[2:3] offset:2
	s_wait_loadcnt 0x0
	v_readfirstlane_b32 s0, v2
	s_bitcmp1_b32 s0, 0
	v_cmp_class_f16_e64 s0, v0, 0x204
	s_cselect_b32 s1, -1, 0
	s_delay_alu instid0(SALU_CYCLE_1) | instskip(NEXT) | instid1(SALU_CYCLE_1)
	s_xor_b32 s1, s1, -1
	s_and_b32 s1, s1, s0
	s_wait_xcnt 0x0
	s_and_saveexec_b32 s0, s1
	s_cbranch_execz .LBB35_14
; %bb.13:
	v_mov_b32_e32 v2, 1
	global_store_b8 v1, v2, s[2:3] offset:2
.LBB35_14:
	s_wait_xcnt 0x0
	s_or_b32 exec_lo, exec_lo, s0
	global_load_u8 v1, v1, s[2:3] offset:3
	s_wait_loadcnt 0x0
	v_and_b32_e32 v1, 1, v1
	s_delay_alu instid0(VALU_DEP_1)
	v_cmp_eq_u32_e32 vcc_lo, 1, v1
	s_cbranch_vccnz .LBB35_3
; %bb.15:
	v_and_b32_e32 v0, 0x7fff, v0
	s_delay_alu instid0(VALU_DEP_1) | instskip(NEXT) | instid1(VALU_DEP_1)
	v_add_nc_u16 v0, v0, -1
	v_cmp_gt_u16_e32 vcc_lo, 0x3ff, v0
	s_and_b32 exec_lo, exec_lo, vcc_lo
	s_cbranch_execz .LBB35_3
; %bb.16:
	v_dual_mov_b32 v0, 0 :: v_dual_mov_b32 v1, 1
	global_store_b8 v0, v1, s[2:3] offset:3
	s_endpgm
	.section	.rodata,"a",@progbits
	.p2align	6, 0x0
	.amdhsa_kernel _ZL49rocblas_check_numerics_sym_herm_tri_matrix_kernelILi16ELi16EPKPDF16_EvbiT1_lllP24rocblas_check_numerics_s
		.amdhsa_group_segment_fixed_size 0
		.amdhsa_private_segment_fixed_size 0
		.amdhsa_kernarg_size 304
		.amdhsa_user_sgpr_count 2
		.amdhsa_user_sgpr_dispatch_ptr 0
		.amdhsa_user_sgpr_queue_ptr 0
		.amdhsa_user_sgpr_kernarg_segment_ptr 1
		.amdhsa_user_sgpr_dispatch_id 0
		.amdhsa_user_sgpr_kernarg_preload_length 0
		.amdhsa_user_sgpr_kernarg_preload_offset 0
		.amdhsa_user_sgpr_private_segment_size 0
		.amdhsa_wavefront_size32 1
		.amdhsa_uses_dynamic_stack 0
		.amdhsa_enable_private_segment 0
		.amdhsa_system_sgpr_workgroup_id_x 1
		.amdhsa_system_sgpr_workgroup_id_y 1
		.amdhsa_system_sgpr_workgroup_id_z 1
		.amdhsa_system_sgpr_workgroup_info 0
		.amdhsa_system_vgpr_workitem_id 1
		.amdhsa_next_free_vgpr 6
		.amdhsa_next_free_sgpr 12
		.amdhsa_named_barrier_count 0
		.amdhsa_reserve_vcc 1
		.amdhsa_float_round_mode_32 0
		.amdhsa_float_round_mode_16_64 0
		.amdhsa_float_denorm_mode_32 3
		.amdhsa_float_denorm_mode_16_64 3
		.amdhsa_fp16_overflow 0
		.amdhsa_memory_ordered 1
		.amdhsa_forward_progress 1
		.amdhsa_inst_pref_size 7
		.amdhsa_round_robin_scheduling 0
		.amdhsa_exception_fp_ieee_invalid_op 0
		.amdhsa_exception_fp_denorm_src 0
		.amdhsa_exception_fp_ieee_div_zero 0
		.amdhsa_exception_fp_ieee_overflow 0
		.amdhsa_exception_fp_ieee_underflow 0
		.amdhsa_exception_fp_ieee_inexact 0
		.amdhsa_exception_int_div_zero 0
	.end_amdhsa_kernel
	.section	.text._ZL49rocblas_check_numerics_sym_herm_tri_matrix_kernelILi16ELi16EPKPDF16_EvbiT1_lllP24rocblas_check_numerics_s,"axG",@progbits,_ZL49rocblas_check_numerics_sym_herm_tri_matrix_kernelILi16ELi16EPKPDF16_EvbiT1_lllP24rocblas_check_numerics_s,comdat
.Lfunc_end35:
	.size	_ZL49rocblas_check_numerics_sym_herm_tri_matrix_kernelILi16ELi16EPKPDF16_EvbiT1_lllP24rocblas_check_numerics_s, .Lfunc_end35-_ZL49rocblas_check_numerics_sym_herm_tri_matrix_kernelILi16ELi16EPKPDF16_EvbiT1_lllP24rocblas_check_numerics_s
                                        ; -- End function
	.set _ZL49rocblas_check_numerics_sym_herm_tri_matrix_kernelILi16ELi16EPKPDF16_EvbiT1_lllP24rocblas_check_numerics_s.num_vgpr, 6
	.set _ZL49rocblas_check_numerics_sym_herm_tri_matrix_kernelILi16ELi16EPKPDF16_EvbiT1_lllP24rocblas_check_numerics_s.num_agpr, 0
	.set _ZL49rocblas_check_numerics_sym_herm_tri_matrix_kernelILi16ELi16EPKPDF16_EvbiT1_lllP24rocblas_check_numerics_s.numbered_sgpr, 12
	.set _ZL49rocblas_check_numerics_sym_herm_tri_matrix_kernelILi16ELi16EPKPDF16_EvbiT1_lllP24rocblas_check_numerics_s.num_named_barrier, 0
	.set _ZL49rocblas_check_numerics_sym_herm_tri_matrix_kernelILi16ELi16EPKPDF16_EvbiT1_lllP24rocblas_check_numerics_s.private_seg_size, 0
	.set _ZL49rocblas_check_numerics_sym_herm_tri_matrix_kernelILi16ELi16EPKPDF16_EvbiT1_lllP24rocblas_check_numerics_s.uses_vcc, 1
	.set _ZL49rocblas_check_numerics_sym_herm_tri_matrix_kernelILi16ELi16EPKPDF16_EvbiT1_lllP24rocblas_check_numerics_s.uses_flat_scratch, 0
	.set _ZL49rocblas_check_numerics_sym_herm_tri_matrix_kernelILi16ELi16EPKPDF16_EvbiT1_lllP24rocblas_check_numerics_s.has_dyn_sized_stack, 0
	.set _ZL49rocblas_check_numerics_sym_herm_tri_matrix_kernelILi16ELi16EPKPDF16_EvbiT1_lllP24rocblas_check_numerics_s.has_recursion, 0
	.set _ZL49rocblas_check_numerics_sym_herm_tri_matrix_kernelILi16ELi16EPKPDF16_EvbiT1_lllP24rocblas_check_numerics_s.has_indirect_call, 0
	.section	.AMDGPU.csdata,"",@progbits
; Kernel info:
; codeLenInByte = 796
; TotalNumSgprs: 14
; NumVgprs: 6
; ScratchSize: 0
; MemoryBound: 0
; FloatMode: 240
; IeeeMode: 1
; LDSByteSize: 0 bytes/workgroup (compile time only)
; SGPRBlocks: 0
; VGPRBlocks: 0
; NumSGPRsForWavesPerEU: 14
; NumVGPRsForWavesPerEU: 6
; NamedBarCnt: 0
; Occupancy: 16
; WaveLimiterHint : 1
; COMPUTE_PGM_RSRC2:SCRATCH_EN: 0
; COMPUTE_PGM_RSRC2:USER_SGPR: 2
; COMPUTE_PGM_RSRC2:TRAP_HANDLER: 0
; COMPUTE_PGM_RSRC2:TGID_X_EN: 1
; COMPUTE_PGM_RSRC2:TGID_Y_EN: 1
; COMPUTE_PGM_RSRC2:TGID_Z_EN: 1
; COMPUTE_PGM_RSRC2:TIDIG_COMP_CNT: 1
	.section	.text._ZL39rocblas_check_numerics_ge_matrix_kernelILi16ELi16EPKDF16_EviiT1_lllP24rocblas_check_numerics_s,"axG",@progbits,_ZL39rocblas_check_numerics_ge_matrix_kernelILi16ELi16EPKDF16_EviiT1_lllP24rocblas_check_numerics_s,comdat
	.globl	_ZL39rocblas_check_numerics_ge_matrix_kernelILi16ELi16EPKDF16_EviiT1_lllP24rocblas_check_numerics_s ; -- Begin function _ZL39rocblas_check_numerics_ge_matrix_kernelILi16ELi16EPKDF16_EviiT1_lllP24rocblas_check_numerics_s
	.p2align	8
	.type	_ZL39rocblas_check_numerics_ge_matrix_kernelILi16ELi16EPKDF16_EviiT1_lllP24rocblas_check_numerics_s,@function
_ZL39rocblas_check_numerics_ge_matrix_kernelILi16ELi16EPKDF16_EviiT1_lllP24rocblas_check_numerics_s: ; @_ZL39rocblas_check_numerics_ge_matrix_kernelILi16ELi16EPKDF16_EviiT1_lllP24rocblas_check_numerics_s
; %bb.0:
	s_clause 0x1
	s_load_b32 s4, s[0:1], 0x3c
	s_load_b64 s[2:3], s[0:1], 0x0
	s_bfe_u32 s6, ttmp6, 0x40010
	s_bfe_u32 s9, ttmp6, 0x4000c
	s_and_b32 s5, ttmp7, 0xffff
	s_add_co_i32 s6, s6, 1
	s_add_co_i32 s9, s9, 1
	s_bfe_u32 s7, ttmp6, 0x40004
	s_and_b32 s8, ttmp6, 15
	s_mul_i32 s6, s5, s6
	s_mul_i32 s9, ttmp9, s9
	s_getreg_b32 s12, hwreg(HW_REG_IB_STS2, 6, 4)
	v_and_b32_e32 v1, 0x3ff, v0
	v_bfe_u32 v2, v0, 10, 10
	s_add_co_i32 s7, s7, s6
	s_add_co_i32 s8, s8, s9
	s_mov_b32 s13, 0
	s_wait_kmcnt 0x0
	s_lshr_b32 s6, s4, 16
	s_and_b32 s4, s4, 0xffff
	s_cmp_eq_u32 s12, 0
	s_cselect_b32 s8, ttmp9, s8
	s_cselect_b32 s5, s5, s7
	v_mad_u32 v0, s8, s4, v1
	v_mad_u32 v2, s5, s6, v2
	s_delay_alu instid0(VALU_DEP_2) | instskip(NEXT) | instid1(VALU_DEP_2)
	v_cmp_gt_i32_e32 vcc_lo, s2, v0
	v_cmp_gt_i32_e64 s2, s3, v2
	s_and_b32 s2, vcc_lo, s2
	s_delay_alu instid0(SALU_CYCLE_1)
	s_and_saveexec_b32 s3, s2
	s_cbranch_execz .LBB36_12
; %bb.1:
	s_load_b256 s[4:11], s[0:1], 0x8
	v_ashrrev_i32_e32 v3, 31, v2
	s_bfe_u32 s2, ttmp6, 0x40014
	v_ashrrev_i32_e32 v1, 31, v0
	s_wait_kmcnt 0x0
	s_delay_alu instid0(VALU_DEP_2)
	v_mul_u64_e32 v[4:5], s[8:9], v[2:3]
	s_lshr_b32 s8, ttmp7, 16
	s_add_co_i32 s9, s2, 1
	s_load_b64 s[2:3], s[0:1], 0x28
	s_wait_xcnt 0x0
	s_mul_i32 s0, s8, s9
	s_bfe_u32 s1, ttmp6, 0x40008
	v_mov_b32_e32 v2, 0
	s_add_co_i32 s1, s1, s0
	s_cmp_eq_u32 s12, 0
	s_cselect_b32 s12, s8, s1
	s_delay_alu instid0(SALU_CYCLE_1) | instskip(NEXT) | instid1(SALU_CYCLE_1)
	s_mul_u64 s[0:1], s[10:11], s[12:13]
	s_lshl_b64 s[0:1], s[0:1], 1
	s_delay_alu instid0(SALU_CYCLE_1) | instskip(SKIP_1) | instid1(SALU_CYCLE_1)
	s_add_nc_u64 s[0:1], s[4:5], s[0:1]
	s_lshl_b64 s[4:5], s[6:7], 1
	s_add_nc_u64 s[0:1], s[0:1], s[4:5]
	s_wait_kmcnt 0x0
	global_load_u8 v3, v2, s[2:3] offset:1
	v_lshl_add_u64 v[4:5], v[4:5], 1, s[0:1]
	s_delay_alu instid0(VALU_DEP_1)
	v_lshl_add_u64 v[0:1], v[0:1], 1, v[4:5]
	global_load_u16 v0, v[0:1], off
	s_wait_loadcnt 0x1
	v_readfirstlane_b32 s0, v3
	s_bitcmp1_b32 s0, 0
	s_cselect_b32 s0, -1, 0
	s_delay_alu instid0(SALU_CYCLE_1) | instskip(SKIP_3) | instid1(SALU_CYCLE_1)
	s_xor_b32 s0, s0, -1
	s_wait_loadcnt 0x0
	v_cmp_eq_f16_e32 vcc_lo, 0, v0
	s_and_b32 s1, s0, vcc_lo
	s_and_saveexec_b32 s0, s1
	s_cbranch_execz .LBB36_3
; %bb.2:
	v_mov_b32_e32 v1, 1
	global_store_b8 v2, v1, s[2:3] offset:1
.LBB36_3:
	s_wait_xcnt 0x0
	s_or_b32 exec_lo, exec_lo, s0
	global_load_u8 v1, v2, s[2:3]
	s_wait_loadcnt 0x0
	v_and_b32_e32 v1, 1, v1
	s_delay_alu instid0(VALU_DEP_1)
	v_cmp_eq_u32_e32 vcc_lo, 1, v1
	s_cbranch_vccnz .LBB36_7
; %bb.4:
	v_and_b32_e32 v1, 0xffff, v0
	s_wait_xcnt 0x0
	s_delay_alu instid0(VALU_DEP_1) | instskip(SKIP_1) | instid1(VALU_DEP_2)
	v_and_b32_e32 v2, 0x7c00, v1
	v_and_b32_e32 v1, 0x3ff, v1
	v_cmp_eq_u32_e32 vcc_lo, 0x7c00, v2
	s_delay_alu instid0(VALU_DEP_2) | instskip(SKIP_1) | instid1(SALU_CYCLE_1)
	v_cmp_ne_u32_e64 s0, 0, v1
	s_and_b32 s1, vcc_lo, s0
	s_and_saveexec_b32 s0, s1
	s_cbranch_execz .LBB36_6
; %bb.5:
	v_dual_mov_b32 v1, 0 :: v_dual_mov_b32 v2, 1
	global_store_b8 v1, v2, s[2:3]
.LBB36_6:
	s_wait_xcnt 0x0
	s_or_b32 exec_lo, exec_lo, s0
.LBB36_7:
	v_mov_b32_e32 v1, 0
	global_load_u8 v2, v1, s[2:3] offset:2
	s_wait_loadcnt 0x0
	v_readfirstlane_b32 s0, v2
	s_bitcmp1_b32 s0, 0
	v_cmp_class_f16_e64 s0, v0, 0x204
	s_cselect_b32 s1, -1, 0
	s_delay_alu instid0(SALU_CYCLE_1) | instskip(NEXT) | instid1(SALU_CYCLE_1)
	s_xor_b32 s1, s1, -1
	s_and_b32 s1, s1, s0
	s_wait_xcnt 0x0
	s_and_saveexec_b32 s0, s1
	s_cbranch_execz .LBB36_9
; %bb.8:
	v_mov_b32_e32 v2, 1
	global_store_b8 v1, v2, s[2:3] offset:2
.LBB36_9:
	s_wait_xcnt 0x0
	s_or_b32 exec_lo, exec_lo, s0
	global_load_u8 v1, v1, s[2:3] offset:3
	s_wait_loadcnt 0x0
	v_and_b32_e32 v1, 1, v1
	s_delay_alu instid0(VALU_DEP_1)
	v_cmp_eq_u32_e32 vcc_lo, 1, v1
	s_cbranch_vccnz .LBB36_12
; %bb.10:
	v_and_b32_e32 v0, 0x7fff, v0
	s_delay_alu instid0(VALU_DEP_1) | instskip(NEXT) | instid1(VALU_DEP_1)
	v_add_nc_u16 v0, v0, -1
	v_cmp_gt_u16_e32 vcc_lo, 0x3ff, v0
	s_and_b32 exec_lo, exec_lo, vcc_lo
	s_cbranch_execz .LBB36_12
; %bb.11:
	v_dual_mov_b32 v0, 0 :: v_dual_mov_b32 v1, 1
	global_store_b8 v0, v1, s[2:3] offset:3
.LBB36_12:
	s_endpgm
	.section	.rodata,"a",@progbits
	.p2align	6, 0x0
	.amdhsa_kernel _ZL39rocblas_check_numerics_ge_matrix_kernelILi16ELi16EPKDF16_EviiT1_lllP24rocblas_check_numerics_s
		.amdhsa_group_segment_fixed_size 0
		.amdhsa_private_segment_fixed_size 0
		.amdhsa_kernarg_size 304
		.amdhsa_user_sgpr_count 2
		.amdhsa_user_sgpr_dispatch_ptr 0
		.amdhsa_user_sgpr_queue_ptr 0
		.amdhsa_user_sgpr_kernarg_segment_ptr 1
		.amdhsa_user_sgpr_dispatch_id 0
		.amdhsa_user_sgpr_kernarg_preload_length 0
		.amdhsa_user_sgpr_kernarg_preload_offset 0
		.amdhsa_user_sgpr_private_segment_size 0
		.amdhsa_wavefront_size32 1
		.amdhsa_uses_dynamic_stack 0
		.amdhsa_enable_private_segment 0
		.amdhsa_system_sgpr_workgroup_id_x 1
		.amdhsa_system_sgpr_workgroup_id_y 1
		.amdhsa_system_sgpr_workgroup_id_z 1
		.amdhsa_system_sgpr_workgroup_info 0
		.amdhsa_system_vgpr_workitem_id 1
		.amdhsa_next_free_vgpr 6
		.amdhsa_next_free_sgpr 14
		.amdhsa_named_barrier_count 0
		.amdhsa_reserve_vcc 1
		.amdhsa_float_round_mode_32 0
		.amdhsa_float_round_mode_16_64 0
		.amdhsa_float_denorm_mode_32 3
		.amdhsa_float_denorm_mode_16_64 3
		.amdhsa_fp16_overflow 0
		.amdhsa_memory_ordered 1
		.amdhsa_forward_progress 1
		.amdhsa_inst_pref_size 6
		.amdhsa_round_robin_scheduling 0
		.amdhsa_exception_fp_ieee_invalid_op 0
		.amdhsa_exception_fp_denorm_src 0
		.amdhsa_exception_fp_ieee_div_zero 0
		.amdhsa_exception_fp_ieee_overflow 0
		.amdhsa_exception_fp_ieee_underflow 0
		.amdhsa_exception_fp_ieee_inexact 0
		.amdhsa_exception_int_div_zero 0
	.end_amdhsa_kernel
	.section	.text._ZL39rocblas_check_numerics_ge_matrix_kernelILi16ELi16EPKDF16_EviiT1_lllP24rocblas_check_numerics_s,"axG",@progbits,_ZL39rocblas_check_numerics_ge_matrix_kernelILi16ELi16EPKDF16_EviiT1_lllP24rocblas_check_numerics_s,comdat
.Lfunc_end36:
	.size	_ZL39rocblas_check_numerics_ge_matrix_kernelILi16ELi16EPKDF16_EviiT1_lllP24rocblas_check_numerics_s, .Lfunc_end36-_ZL39rocblas_check_numerics_ge_matrix_kernelILi16ELi16EPKDF16_EviiT1_lllP24rocblas_check_numerics_s
                                        ; -- End function
	.set _ZL39rocblas_check_numerics_ge_matrix_kernelILi16ELi16EPKDF16_EviiT1_lllP24rocblas_check_numerics_s.num_vgpr, 6
	.set _ZL39rocblas_check_numerics_ge_matrix_kernelILi16ELi16EPKDF16_EviiT1_lllP24rocblas_check_numerics_s.num_agpr, 0
	.set _ZL39rocblas_check_numerics_ge_matrix_kernelILi16ELi16EPKDF16_EviiT1_lllP24rocblas_check_numerics_s.numbered_sgpr, 14
	.set _ZL39rocblas_check_numerics_ge_matrix_kernelILi16ELi16EPKDF16_EviiT1_lllP24rocblas_check_numerics_s.num_named_barrier, 0
	.set _ZL39rocblas_check_numerics_ge_matrix_kernelILi16ELi16EPKDF16_EviiT1_lllP24rocblas_check_numerics_s.private_seg_size, 0
	.set _ZL39rocblas_check_numerics_ge_matrix_kernelILi16ELi16EPKDF16_EviiT1_lllP24rocblas_check_numerics_s.uses_vcc, 1
	.set _ZL39rocblas_check_numerics_ge_matrix_kernelILi16ELi16EPKDF16_EviiT1_lllP24rocblas_check_numerics_s.uses_flat_scratch, 0
	.set _ZL39rocblas_check_numerics_ge_matrix_kernelILi16ELi16EPKDF16_EviiT1_lllP24rocblas_check_numerics_s.has_dyn_sized_stack, 0
	.set _ZL39rocblas_check_numerics_ge_matrix_kernelILi16ELi16EPKDF16_EviiT1_lllP24rocblas_check_numerics_s.has_recursion, 0
	.set _ZL39rocblas_check_numerics_ge_matrix_kernelILi16ELi16EPKDF16_EviiT1_lllP24rocblas_check_numerics_s.has_indirect_call, 0
	.section	.AMDGPU.csdata,"",@progbits
; Kernel info:
; codeLenInByte = 716
; TotalNumSgprs: 16
; NumVgprs: 6
; ScratchSize: 0
; MemoryBound: 0
; FloatMode: 240
; IeeeMode: 1
; LDSByteSize: 0 bytes/workgroup (compile time only)
; SGPRBlocks: 0
; VGPRBlocks: 0
; NumSGPRsForWavesPerEU: 16
; NumVGPRsForWavesPerEU: 6
; NamedBarCnt: 0
; Occupancy: 16
; WaveLimiterHint : 0
; COMPUTE_PGM_RSRC2:SCRATCH_EN: 0
; COMPUTE_PGM_RSRC2:USER_SGPR: 2
; COMPUTE_PGM_RSRC2:TRAP_HANDLER: 0
; COMPUTE_PGM_RSRC2:TGID_X_EN: 1
; COMPUTE_PGM_RSRC2:TGID_Y_EN: 1
; COMPUTE_PGM_RSRC2:TGID_Z_EN: 1
; COMPUTE_PGM_RSRC2:TIDIG_COMP_CNT: 1
	.section	.text._ZL49rocblas_check_numerics_sym_herm_tri_matrix_kernelILi16ELi16EPKDF16_EvbiT1_lllP24rocblas_check_numerics_s,"axG",@progbits,_ZL49rocblas_check_numerics_sym_herm_tri_matrix_kernelILi16ELi16EPKDF16_EvbiT1_lllP24rocblas_check_numerics_s,comdat
	.globl	_ZL49rocblas_check_numerics_sym_herm_tri_matrix_kernelILi16ELi16EPKDF16_EvbiT1_lllP24rocblas_check_numerics_s ; -- Begin function _ZL49rocblas_check_numerics_sym_herm_tri_matrix_kernelILi16ELi16EPKDF16_EvbiT1_lllP24rocblas_check_numerics_s
	.p2align	8
	.type	_ZL49rocblas_check_numerics_sym_herm_tri_matrix_kernelILi16ELi16EPKDF16_EvbiT1_lllP24rocblas_check_numerics_s,@function
_ZL49rocblas_check_numerics_sym_herm_tri_matrix_kernelILi16ELi16EPKDF16_EvbiT1_lllP24rocblas_check_numerics_s: ; @_ZL49rocblas_check_numerics_sym_herm_tri_matrix_kernelILi16ELi16EPKDF16_EvbiT1_lllP24rocblas_check_numerics_s
; %bb.0:
	s_clause 0x1
	s_load_b64 s[2:3], s[0:1], 0x0
	s_load_b32 s4, s[0:1], 0x3c
	s_bfe_u32 s6, ttmp6, 0x4000c
	s_bfe_u32 s8, ttmp6, 0x40010
	s_and_b32 s7, ttmp7, 0xffff
	s_add_co_i32 s6, s6, 1
	s_add_co_i32 s8, s8, 1
	s_and_b32 s5, ttmp6, 15
	s_bfe_u32 s9, ttmp6, 0x40004
	s_mul_i32 s6, ttmp9, s6
	s_mul_i32 s8, s7, s8
	s_getreg_b32 s12, hwreg(HW_REG_IB_STS2, 6, 4)
	v_and_b32_e32 v1, 0x3ff, v0
	v_bfe_u32 v2, v0, 10, 10
	s_add_co_i32 s5, s5, s6
	s_add_co_i32 s9, s9, s8
	s_wait_kmcnt 0x0
	s_and_b32 s2, s2, 1
	s_lshr_b32 s6, s4, 16
	s_and_b32 s4, s4, 0xffff
	s_cmp_eq_u32 s12, 0
	s_cselect_b32 s5, ttmp9, s5
	s_cselect_b32 s7, s7, s9
	v_mad_u32 v0, s5, s4, v1
	v_mad_u32 v2, s7, s6, v2
	s_mov_b32 s4, 0
	s_cmp_eq_u32 s2, 0
	s_mov_b32 s2, -1
	s_cbranch_scc1 .LBB37_4
; %bb.1:
	s_and_not1_b32 vcc_lo, exec_lo, s2
	s_cbranch_vccz .LBB37_5
.LBB37_2:
	s_and_saveexec_b32 s2, s4
	s_cbranch_execnz .LBB37_6
.LBB37_3:
	s_endpgm
.LBB37_4:
	s_delay_alu instid0(VALU_DEP_2) | instskip(NEXT) | instid1(VALU_DEP_2)
	v_cmp_gt_i32_e32 vcc_lo, s3, v0
	v_cmp_le_i32_e64 s2, v2, v0
	s_and_b32 s4, vcc_lo, s2
	s_delay_alu instid0(SALU_CYCLE_1)
	s_and_b32 s4, s4, exec_lo
	s_cbranch_execnz .LBB37_2
.LBB37_5:
	s_delay_alu instid0(VALU_DEP_1) | instskip(NEXT) | instid1(VALU_DEP_3)
	v_cmp_gt_i32_e32 vcc_lo, s3, v2
	v_cmp_le_i32_e64 s2, v0, v2
	s_and_not1_b32 s3, s4, exec_lo
	s_and_b32 s2, vcc_lo, s2
	s_delay_alu instid0(SALU_CYCLE_1) | instskip(NEXT) | instid1(SALU_CYCLE_1)
	s_and_b32 s2, s2, exec_lo
	s_or_b32 s4, s3, s2
	s_delay_alu instid0(SALU_CYCLE_1)
	s_and_saveexec_b32 s2, s4
	s_cbranch_execz .LBB37_3
.LBB37_6:
	s_load_b256 s[4:11], s[0:1], 0x8
	s_delay_alu instid0(VALU_DEP_1) | instskip(SKIP_3) | instid1(VALU_DEP_2)
	v_ashrrev_i32_e32 v3, 31, v2
	s_bfe_u32 s2, ttmp6, 0x40014
	v_ashrrev_i32_e32 v1, 31, v0
	s_wait_kmcnt 0x0
	v_mul_u64_e32 v[4:5], s[8:9], v[2:3]
	s_lshr_b32 s8, ttmp7, 16
	s_add_co_i32 s9, s2, 1
	s_load_b64 s[2:3], s[0:1], 0x28
	s_wait_xcnt 0x0
	s_mul_i32 s0, s8, s9
	s_bfe_u32 s1, ttmp6, 0x40008
	v_mov_b32_e32 v2, 0
	s_add_co_i32 s0, s1, s0
	s_cmp_eq_u32 s12, 0
	s_mov_b32 s1, 0
	s_cselect_b32 s0, s8, s0
	s_delay_alu instid0(SALU_CYCLE_1) | instskip(NEXT) | instid1(SALU_CYCLE_1)
	s_mul_u64 s[0:1], s[10:11], s[0:1]
	s_lshl_b64 s[0:1], s[0:1], 1
	s_delay_alu instid0(SALU_CYCLE_1) | instskip(SKIP_1) | instid1(SALU_CYCLE_1)
	s_add_nc_u64 s[0:1], s[4:5], s[0:1]
	s_lshl_b64 s[4:5], s[6:7], 1
	s_add_nc_u64 s[0:1], s[0:1], s[4:5]
	s_wait_kmcnt 0x0
	global_load_u8 v3, v2, s[2:3] offset:1
	v_lshl_add_u64 v[4:5], v[4:5], 1, s[0:1]
	s_delay_alu instid0(VALU_DEP_1)
	v_lshl_add_u64 v[0:1], v[0:1], 1, v[4:5]
	global_load_u16 v0, v[0:1], off
	s_wait_loadcnt 0x1
	v_readfirstlane_b32 s0, v3
	s_bitcmp1_b32 s0, 0
	s_cselect_b32 s0, -1, 0
	s_delay_alu instid0(SALU_CYCLE_1) | instskip(SKIP_3) | instid1(SALU_CYCLE_1)
	s_xor_b32 s0, s0, -1
	s_wait_loadcnt 0x0
	v_cmp_eq_f16_e32 vcc_lo, 0, v0
	s_and_b32 s1, s0, vcc_lo
	s_and_saveexec_b32 s0, s1
	s_cbranch_execz .LBB37_8
; %bb.7:
	v_mov_b32_e32 v1, 1
	global_store_b8 v2, v1, s[2:3] offset:1
.LBB37_8:
	s_wait_xcnt 0x0
	s_or_b32 exec_lo, exec_lo, s0
	global_load_u8 v1, v2, s[2:3]
	s_wait_loadcnt 0x0
	v_and_b32_e32 v1, 1, v1
	s_delay_alu instid0(VALU_DEP_1)
	v_cmp_eq_u32_e32 vcc_lo, 1, v1
	s_cbranch_vccnz .LBB37_12
; %bb.9:
	v_and_b32_e32 v1, 0xffff, v0
	s_wait_xcnt 0x0
	s_delay_alu instid0(VALU_DEP_1) | instskip(SKIP_1) | instid1(VALU_DEP_2)
	v_and_b32_e32 v2, 0x7c00, v1
	v_and_b32_e32 v1, 0x3ff, v1
	v_cmp_eq_u32_e32 vcc_lo, 0x7c00, v2
	s_delay_alu instid0(VALU_DEP_2) | instskip(SKIP_1) | instid1(SALU_CYCLE_1)
	v_cmp_ne_u32_e64 s0, 0, v1
	s_and_b32 s1, vcc_lo, s0
	s_and_saveexec_b32 s0, s1
	s_cbranch_execz .LBB37_11
; %bb.10:
	v_dual_mov_b32 v1, 0 :: v_dual_mov_b32 v2, 1
	global_store_b8 v1, v2, s[2:3]
.LBB37_11:
	s_wait_xcnt 0x0
	s_or_b32 exec_lo, exec_lo, s0
.LBB37_12:
	v_mov_b32_e32 v1, 0
	global_load_u8 v2, v1, s[2:3] offset:2
	s_wait_loadcnt 0x0
	v_readfirstlane_b32 s0, v2
	s_bitcmp1_b32 s0, 0
	v_cmp_class_f16_e64 s0, v0, 0x204
	s_cselect_b32 s1, -1, 0
	s_delay_alu instid0(SALU_CYCLE_1) | instskip(NEXT) | instid1(SALU_CYCLE_1)
	s_xor_b32 s1, s1, -1
	s_and_b32 s1, s1, s0
	s_wait_xcnt 0x0
	s_and_saveexec_b32 s0, s1
	s_cbranch_execz .LBB37_14
; %bb.13:
	v_mov_b32_e32 v2, 1
	global_store_b8 v1, v2, s[2:3] offset:2
.LBB37_14:
	s_wait_xcnt 0x0
	s_or_b32 exec_lo, exec_lo, s0
	global_load_u8 v1, v1, s[2:3] offset:3
	s_wait_loadcnt 0x0
	v_and_b32_e32 v1, 1, v1
	s_delay_alu instid0(VALU_DEP_1)
	v_cmp_eq_u32_e32 vcc_lo, 1, v1
	s_cbranch_vccnz .LBB37_3
; %bb.15:
	v_and_b32_e32 v0, 0x7fff, v0
	s_delay_alu instid0(VALU_DEP_1) | instskip(NEXT) | instid1(VALU_DEP_1)
	v_add_nc_u16 v0, v0, -1
	v_cmp_gt_u16_e32 vcc_lo, 0x3ff, v0
	s_and_b32 exec_lo, exec_lo, vcc_lo
	s_cbranch_execz .LBB37_3
; %bb.16:
	v_dual_mov_b32 v0, 0 :: v_dual_mov_b32 v1, 1
	global_store_b8 v0, v1, s[2:3] offset:3
	s_endpgm
	.section	.rodata,"a",@progbits
	.p2align	6, 0x0
	.amdhsa_kernel _ZL49rocblas_check_numerics_sym_herm_tri_matrix_kernelILi16ELi16EPKDF16_EvbiT1_lllP24rocblas_check_numerics_s
		.amdhsa_group_segment_fixed_size 0
		.amdhsa_private_segment_fixed_size 0
		.amdhsa_kernarg_size 304
		.amdhsa_user_sgpr_count 2
		.amdhsa_user_sgpr_dispatch_ptr 0
		.amdhsa_user_sgpr_queue_ptr 0
		.amdhsa_user_sgpr_kernarg_segment_ptr 1
		.amdhsa_user_sgpr_dispatch_id 0
		.amdhsa_user_sgpr_kernarg_preload_length 0
		.amdhsa_user_sgpr_kernarg_preload_offset 0
		.amdhsa_user_sgpr_private_segment_size 0
		.amdhsa_wavefront_size32 1
		.amdhsa_uses_dynamic_stack 0
		.amdhsa_enable_private_segment 0
		.amdhsa_system_sgpr_workgroup_id_x 1
		.amdhsa_system_sgpr_workgroup_id_y 1
		.amdhsa_system_sgpr_workgroup_id_z 1
		.amdhsa_system_sgpr_workgroup_info 0
		.amdhsa_system_vgpr_workitem_id 1
		.amdhsa_next_free_vgpr 6
		.amdhsa_next_free_sgpr 13
		.amdhsa_named_barrier_count 0
		.amdhsa_reserve_vcc 1
		.amdhsa_float_round_mode_32 0
		.amdhsa_float_round_mode_16_64 0
		.amdhsa_float_denorm_mode_32 3
		.amdhsa_float_denorm_mode_16_64 3
		.amdhsa_fp16_overflow 0
		.amdhsa_memory_ordered 1
		.amdhsa_forward_progress 1
		.amdhsa_inst_pref_size 7
		.amdhsa_round_robin_scheduling 0
		.amdhsa_exception_fp_ieee_invalid_op 0
		.amdhsa_exception_fp_denorm_src 0
		.amdhsa_exception_fp_ieee_div_zero 0
		.amdhsa_exception_fp_ieee_overflow 0
		.amdhsa_exception_fp_ieee_underflow 0
		.amdhsa_exception_fp_ieee_inexact 0
		.amdhsa_exception_int_div_zero 0
	.end_amdhsa_kernel
	.section	.text._ZL49rocblas_check_numerics_sym_herm_tri_matrix_kernelILi16ELi16EPKDF16_EvbiT1_lllP24rocblas_check_numerics_s,"axG",@progbits,_ZL49rocblas_check_numerics_sym_herm_tri_matrix_kernelILi16ELi16EPKDF16_EvbiT1_lllP24rocblas_check_numerics_s,comdat
.Lfunc_end37:
	.size	_ZL49rocblas_check_numerics_sym_herm_tri_matrix_kernelILi16ELi16EPKDF16_EvbiT1_lllP24rocblas_check_numerics_s, .Lfunc_end37-_ZL49rocblas_check_numerics_sym_herm_tri_matrix_kernelILi16ELi16EPKDF16_EvbiT1_lllP24rocblas_check_numerics_s
                                        ; -- End function
	.set _ZL49rocblas_check_numerics_sym_herm_tri_matrix_kernelILi16ELi16EPKDF16_EvbiT1_lllP24rocblas_check_numerics_s.num_vgpr, 6
	.set _ZL49rocblas_check_numerics_sym_herm_tri_matrix_kernelILi16ELi16EPKDF16_EvbiT1_lllP24rocblas_check_numerics_s.num_agpr, 0
	.set _ZL49rocblas_check_numerics_sym_herm_tri_matrix_kernelILi16ELi16EPKDF16_EvbiT1_lllP24rocblas_check_numerics_s.numbered_sgpr, 13
	.set _ZL49rocblas_check_numerics_sym_herm_tri_matrix_kernelILi16ELi16EPKDF16_EvbiT1_lllP24rocblas_check_numerics_s.num_named_barrier, 0
	.set _ZL49rocblas_check_numerics_sym_herm_tri_matrix_kernelILi16ELi16EPKDF16_EvbiT1_lllP24rocblas_check_numerics_s.private_seg_size, 0
	.set _ZL49rocblas_check_numerics_sym_herm_tri_matrix_kernelILi16ELi16EPKDF16_EvbiT1_lllP24rocblas_check_numerics_s.uses_vcc, 1
	.set _ZL49rocblas_check_numerics_sym_herm_tri_matrix_kernelILi16ELi16EPKDF16_EvbiT1_lllP24rocblas_check_numerics_s.uses_flat_scratch, 0
	.set _ZL49rocblas_check_numerics_sym_herm_tri_matrix_kernelILi16ELi16EPKDF16_EvbiT1_lllP24rocblas_check_numerics_s.has_dyn_sized_stack, 0
	.set _ZL49rocblas_check_numerics_sym_herm_tri_matrix_kernelILi16ELi16EPKDF16_EvbiT1_lllP24rocblas_check_numerics_s.has_recursion, 0
	.set _ZL49rocblas_check_numerics_sym_herm_tri_matrix_kernelILi16ELi16EPKDF16_EvbiT1_lllP24rocblas_check_numerics_s.has_indirect_call, 0
	.section	.AMDGPU.csdata,"",@progbits
; Kernel info:
; codeLenInByte = 804
; TotalNumSgprs: 15
; NumVgprs: 6
; ScratchSize: 0
; MemoryBound: 0
; FloatMode: 240
; IeeeMode: 1
; LDSByteSize: 0 bytes/workgroup (compile time only)
; SGPRBlocks: 0
; VGPRBlocks: 0
; NumSGPRsForWavesPerEU: 15
; NumVGPRsForWavesPerEU: 6
; NamedBarCnt: 0
; Occupancy: 16
; WaveLimiterHint : 0
; COMPUTE_PGM_RSRC2:SCRATCH_EN: 0
; COMPUTE_PGM_RSRC2:USER_SGPR: 2
; COMPUTE_PGM_RSRC2:TRAP_HANDLER: 0
; COMPUTE_PGM_RSRC2:TGID_X_EN: 1
; COMPUTE_PGM_RSRC2:TGID_Y_EN: 1
; COMPUTE_PGM_RSRC2:TGID_Z_EN: 1
; COMPUTE_PGM_RSRC2:TIDIG_COMP_CNT: 1
	.section	.text._ZL39rocblas_check_numerics_ge_matrix_kernelILi16ELi16EPKPKDF16_EviiT1_lllP24rocblas_check_numerics_s,"axG",@progbits,_ZL39rocblas_check_numerics_ge_matrix_kernelILi16ELi16EPKPKDF16_EviiT1_lllP24rocblas_check_numerics_s,comdat
	.globl	_ZL39rocblas_check_numerics_ge_matrix_kernelILi16ELi16EPKPKDF16_EviiT1_lllP24rocblas_check_numerics_s ; -- Begin function _ZL39rocblas_check_numerics_ge_matrix_kernelILi16ELi16EPKPKDF16_EviiT1_lllP24rocblas_check_numerics_s
	.p2align	8
	.type	_ZL39rocblas_check_numerics_ge_matrix_kernelILi16ELi16EPKPKDF16_EviiT1_lllP24rocblas_check_numerics_s,@function
_ZL39rocblas_check_numerics_ge_matrix_kernelILi16ELi16EPKPKDF16_EviiT1_lllP24rocblas_check_numerics_s: ; @_ZL39rocblas_check_numerics_ge_matrix_kernelILi16ELi16EPKPKDF16_EviiT1_lllP24rocblas_check_numerics_s
; %bb.0:
	s_clause 0x1
	s_load_b32 s2, s[0:1], 0x3c
	s_load_b64 s[4:5], s[0:1], 0x0
	s_bfe_u32 s7, ttmp6, 0x40010
	s_bfe_u32 s10, ttmp6, 0x4000c
	s_and_b32 s6, ttmp7, 0xffff
	s_add_co_i32 s7, s7, 1
	s_add_co_i32 s10, s10, 1
	s_bfe_u32 s8, ttmp6, 0x40004
	s_and_b32 s9, ttmp6, 15
	s_mul_i32 s7, s6, s7
	s_mul_i32 s10, ttmp9, s10
	s_getreg_b32 s3, hwreg(HW_REG_IB_STS2, 6, 4)
	v_and_b32_e32 v1, 0x3ff, v0
	v_bfe_u32 v2, v0, 10, 10
	s_add_co_i32 s8, s8, s7
	s_add_co_i32 s9, s9, s10
	s_wait_kmcnt 0x0
	s_lshr_b32 s7, s2, 16
	s_and_b32 s2, s2, 0xffff
	s_cmp_eq_u32 s3, 0
	s_cselect_b32 s9, ttmp9, s9
	s_cselect_b32 s6, s6, s8
	v_mad_u32 v0, s9, s2, v1
	v_mad_u32 v2, s6, s7, v2
	s_delay_alu instid0(VALU_DEP_2) | instskip(NEXT) | instid1(VALU_DEP_2)
	v_cmp_gt_i32_e32 vcc_lo, s4, v0
	v_cmp_gt_i32_e64 s2, s5, v2
	s_and_b32 s2, vcc_lo, s2
	s_delay_alu instid0(SALU_CYCLE_1)
	s_and_saveexec_b32 s4, s2
	s_cbranch_execz .LBB38_12
; %bb.1:
	s_clause 0x1
	s_load_b64 s[8:9], s[0:1], 0x18
	s_load_b128 s[4:7], s[0:1], 0x8
	v_ashrrev_i32_e32 v3, 31, v2
	s_bfe_u32 s2, ttmp6, 0x40014
	s_lshr_b32 s10, ttmp7, 16
	s_add_co_i32 s2, s2, 1
	v_ashrrev_i32_e32 v1, 31, v0
	s_mul_i32 s2, s10, s2
	s_wait_kmcnt 0x0
	v_mul_u64_e32 v[4:5], s[8:9], v[2:3]
	s_bfe_u32 s8, ttmp6, 0x40008
	v_mov_b32_e32 v2, 0
	s_add_co_i32 s8, s8, s2
	s_cmp_eq_u32 s3, 0
	s_cselect_b32 s10, s10, s8
	s_load_b64 s[8:9], s[4:5], s10 offset:0x0 scale_offset
	s_load_b64 s[2:3], s[0:1], 0x28
	s_wait_xcnt 0x0
	s_lshl_b64 s[0:1], s[6:7], 1
	s_wait_kmcnt 0x0
	s_add_nc_u64 s[0:1], s[8:9], s[0:1]
	global_load_u8 v3, v2, s[2:3] offset:1
	v_lshl_add_u64 v[4:5], v[4:5], 1, s[0:1]
	s_delay_alu instid0(VALU_DEP_1)
	v_lshl_add_u64 v[0:1], v[0:1], 1, v[4:5]
	flat_load_u16 v0, v[0:1]
	s_wait_loadcnt 0x1
	v_readfirstlane_b32 s0, v3
	s_bitcmp1_b32 s0, 0
	s_cselect_b32 s0, -1, 0
	s_delay_alu instid0(SALU_CYCLE_1) | instskip(SKIP_3) | instid1(SALU_CYCLE_1)
	s_xor_b32 s0, s0, -1
	s_wait_loadcnt_dscnt 0x0
	v_cmp_eq_f16_e32 vcc_lo, 0, v0
	s_and_b32 s1, s0, vcc_lo
	s_and_saveexec_b32 s0, s1
	s_cbranch_execz .LBB38_3
; %bb.2:
	v_mov_b32_e32 v1, 1
	global_store_b8 v2, v1, s[2:3] offset:1
.LBB38_3:
	s_wait_xcnt 0x0
	s_or_b32 exec_lo, exec_lo, s0
	global_load_u8 v1, v2, s[2:3]
	s_wait_loadcnt 0x0
	v_and_b32_e32 v1, 1, v1
	s_delay_alu instid0(VALU_DEP_1)
	v_cmp_eq_u32_e32 vcc_lo, 1, v1
	s_cbranch_vccnz .LBB38_7
; %bb.4:
	v_and_b32_e32 v1, 0xffff, v0
	s_wait_xcnt 0x0
	s_delay_alu instid0(VALU_DEP_1) | instskip(SKIP_1) | instid1(VALU_DEP_2)
	v_and_b32_e32 v2, 0x7c00, v1
	v_and_b32_e32 v1, 0x3ff, v1
	v_cmp_eq_u32_e32 vcc_lo, 0x7c00, v2
	s_delay_alu instid0(VALU_DEP_2) | instskip(SKIP_1) | instid1(SALU_CYCLE_1)
	v_cmp_ne_u32_e64 s0, 0, v1
	s_and_b32 s1, vcc_lo, s0
	s_and_saveexec_b32 s0, s1
	s_cbranch_execz .LBB38_6
; %bb.5:
	v_dual_mov_b32 v1, 0 :: v_dual_mov_b32 v2, 1
	global_store_b8 v1, v2, s[2:3]
.LBB38_6:
	s_wait_xcnt 0x0
	s_or_b32 exec_lo, exec_lo, s0
.LBB38_7:
	v_mov_b32_e32 v1, 0
	global_load_u8 v2, v1, s[2:3] offset:2
	s_wait_loadcnt 0x0
	v_readfirstlane_b32 s0, v2
	s_bitcmp1_b32 s0, 0
	v_cmp_class_f16_e64 s0, v0, 0x204
	s_cselect_b32 s1, -1, 0
	s_delay_alu instid0(SALU_CYCLE_1) | instskip(NEXT) | instid1(SALU_CYCLE_1)
	s_xor_b32 s1, s1, -1
	s_and_b32 s1, s1, s0
	s_wait_xcnt 0x0
	s_and_saveexec_b32 s0, s1
	s_cbranch_execz .LBB38_9
; %bb.8:
	v_mov_b32_e32 v2, 1
	global_store_b8 v1, v2, s[2:3] offset:2
.LBB38_9:
	s_wait_xcnt 0x0
	s_or_b32 exec_lo, exec_lo, s0
	global_load_u8 v1, v1, s[2:3] offset:3
	s_wait_loadcnt 0x0
	v_and_b32_e32 v1, 1, v1
	s_delay_alu instid0(VALU_DEP_1)
	v_cmp_eq_u32_e32 vcc_lo, 1, v1
	s_cbranch_vccnz .LBB38_12
; %bb.10:
	v_and_b32_e32 v0, 0x7fff, v0
	s_delay_alu instid0(VALU_DEP_1) | instskip(NEXT) | instid1(VALU_DEP_1)
	v_add_nc_u16 v0, v0, -1
	v_cmp_gt_u16_e32 vcc_lo, 0x3ff, v0
	s_and_b32 exec_lo, exec_lo, vcc_lo
	s_cbranch_execz .LBB38_12
; %bb.11:
	v_dual_mov_b32 v0, 0 :: v_dual_mov_b32 v1, 1
	global_store_b8 v0, v1, s[2:3] offset:3
.LBB38_12:
	s_endpgm
	.section	.rodata,"a",@progbits
	.p2align	6, 0x0
	.amdhsa_kernel _ZL39rocblas_check_numerics_ge_matrix_kernelILi16ELi16EPKPKDF16_EviiT1_lllP24rocblas_check_numerics_s
		.amdhsa_group_segment_fixed_size 0
		.amdhsa_private_segment_fixed_size 0
		.amdhsa_kernarg_size 304
		.amdhsa_user_sgpr_count 2
		.amdhsa_user_sgpr_dispatch_ptr 0
		.amdhsa_user_sgpr_queue_ptr 0
		.amdhsa_user_sgpr_kernarg_segment_ptr 1
		.amdhsa_user_sgpr_dispatch_id 0
		.amdhsa_user_sgpr_kernarg_preload_length 0
		.amdhsa_user_sgpr_kernarg_preload_offset 0
		.amdhsa_user_sgpr_private_segment_size 0
		.amdhsa_wavefront_size32 1
		.amdhsa_uses_dynamic_stack 0
		.amdhsa_enable_private_segment 0
		.amdhsa_system_sgpr_workgroup_id_x 1
		.amdhsa_system_sgpr_workgroup_id_y 1
		.amdhsa_system_sgpr_workgroup_id_z 1
		.amdhsa_system_sgpr_workgroup_info 0
		.amdhsa_system_vgpr_workitem_id 1
		.amdhsa_next_free_vgpr 6
		.amdhsa_next_free_sgpr 11
		.amdhsa_named_barrier_count 0
		.amdhsa_reserve_vcc 1
		.amdhsa_float_round_mode_32 0
		.amdhsa_float_round_mode_16_64 0
		.amdhsa_float_denorm_mode_32 3
		.amdhsa_float_denorm_mode_16_64 3
		.amdhsa_fp16_overflow 0
		.amdhsa_memory_ordered 1
		.amdhsa_forward_progress 1
		.amdhsa_inst_pref_size 6
		.amdhsa_round_robin_scheduling 0
		.amdhsa_exception_fp_ieee_invalid_op 0
		.amdhsa_exception_fp_denorm_src 0
		.amdhsa_exception_fp_ieee_div_zero 0
		.amdhsa_exception_fp_ieee_overflow 0
		.amdhsa_exception_fp_ieee_underflow 0
		.amdhsa_exception_fp_ieee_inexact 0
		.amdhsa_exception_int_div_zero 0
	.end_amdhsa_kernel
	.section	.text._ZL39rocblas_check_numerics_ge_matrix_kernelILi16ELi16EPKPKDF16_EviiT1_lllP24rocblas_check_numerics_s,"axG",@progbits,_ZL39rocblas_check_numerics_ge_matrix_kernelILi16ELi16EPKPKDF16_EviiT1_lllP24rocblas_check_numerics_s,comdat
.Lfunc_end38:
	.size	_ZL39rocblas_check_numerics_ge_matrix_kernelILi16ELi16EPKPKDF16_EviiT1_lllP24rocblas_check_numerics_s, .Lfunc_end38-_ZL39rocblas_check_numerics_ge_matrix_kernelILi16ELi16EPKPKDF16_EviiT1_lllP24rocblas_check_numerics_s
                                        ; -- End function
	.set _ZL39rocblas_check_numerics_ge_matrix_kernelILi16ELi16EPKPKDF16_EviiT1_lllP24rocblas_check_numerics_s.num_vgpr, 6
	.set _ZL39rocblas_check_numerics_ge_matrix_kernelILi16ELi16EPKPKDF16_EviiT1_lllP24rocblas_check_numerics_s.num_agpr, 0
	.set _ZL39rocblas_check_numerics_ge_matrix_kernelILi16ELi16EPKPKDF16_EviiT1_lllP24rocblas_check_numerics_s.numbered_sgpr, 11
	.set _ZL39rocblas_check_numerics_ge_matrix_kernelILi16ELi16EPKPKDF16_EviiT1_lllP24rocblas_check_numerics_s.num_named_barrier, 0
	.set _ZL39rocblas_check_numerics_ge_matrix_kernelILi16ELi16EPKPKDF16_EviiT1_lllP24rocblas_check_numerics_s.private_seg_size, 0
	.set _ZL39rocblas_check_numerics_ge_matrix_kernelILi16ELi16EPKPKDF16_EviiT1_lllP24rocblas_check_numerics_s.uses_vcc, 1
	.set _ZL39rocblas_check_numerics_ge_matrix_kernelILi16ELi16EPKPKDF16_EviiT1_lllP24rocblas_check_numerics_s.uses_flat_scratch, 0
	.set _ZL39rocblas_check_numerics_ge_matrix_kernelILi16ELi16EPKPKDF16_EviiT1_lllP24rocblas_check_numerics_s.has_dyn_sized_stack, 0
	.set _ZL39rocblas_check_numerics_ge_matrix_kernelILi16ELi16EPKPKDF16_EviiT1_lllP24rocblas_check_numerics_s.has_recursion, 0
	.set _ZL39rocblas_check_numerics_ge_matrix_kernelILi16ELi16EPKPKDF16_EviiT1_lllP24rocblas_check_numerics_s.has_indirect_call, 0
	.section	.AMDGPU.csdata,"",@progbits
; Kernel info:
; codeLenInByte = 708
; TotalNumSgprs: 13
; NumVgprs: 6
; ScratchSize: 0
; MemoryBound: 0
; FloatMode: 240
; IeeeMode: 1
; LDSByteSize: 0 bytes/workgroup (compile time only)
; SGPRBlocks: 0
; VGPRBlocks: 0
; NumSGPRsForWavesPerEU: 13
; NumVGPRsForWavesPerEU: 6
; NamedBarCnt: 0
; Occupancy: 16
; WaveLimiterHint : 1
; COMPUTE_PGM_RSRC2:SCRATCH_EN: 0
; COMPUTE_PGM_RSRC2:USER_SGPR: 2
; COMPUTE_PGM_RSRC2:TRAP_HANDLER: 0
; COMPUTE_PGM_RSRC2:TGID_X_EN: 1
; COMPUTE_PGM_RSRC2:TGID_Y_EN: 1
; COMPUTE_PGM_RSRC2:TGID_Z_EN: 1
; COMPUTE_PGM_RSRC2:TIDIG_COMP_CNT: 1
	.section	.text._ZL49rocblas_check_numerics_sym_herm_tri_matrix_kernelILi16ELi16EPKPKDF16_EvbiT1_lllP24rocblas_check_numerics_s,"axG",@progbits,_ZL49rocblas_check_numerics_sym_herm_tri_matrix_kernelILi16ELi16EPKPKDF16_EvbiT1_lllP24rocblas_check_numerics_s,comdat
	.globl	_ZL49rocblas_check_numerics_sym_herm_tri_matrix_kernelILi16ELi16EPKPKDF16_EvbiT1_lllP24rocblas_check_numerics_s ; -- Begin function _ZL49rocblas_check_numerics_sym_herm_tri_matrix_kernelILi16ELi16EPKPKDF16_EvbiT1_lllP24rocblas_check_numerics_s
	.p2align	8
	.type	_ZL49rocblas_check_numerics_sym_herm_tri_matrix_kernelILi16ELi16EPKPKDF16_EvbiT1_lllP24rocblas_check_numerics_s,@function
_ZL49rocblas_check_numerics_sym_herm_tri_matrix_kernelILi16ELi16EPKPKDF16_EvbiT1_lllP24rocblas_check_numerics_s: ; @_ZL49rocblas_check_numerics_sym_herm_tri_matrix_kernelILi16ELi16EPKPKDF16_EvbiT1_lllP24rocblas_check_numerics_s
; %bb.0:
	s_clause 0x1
	s_load_b64 s[2:3], s[0:1], 0x0
	s_load_b32 s5, s[0:1], 0x3c
	s_bfe_u32 s7, ttmp6, 0x4000c
	s_bfe_u32 s9, ttmp6, 0x40010
	s_and_b32 s8, ttmp7, 0xffff
	s_add_co_i32 s7, s7, 1
	s_add_co_i32 s9, s9, 1
	s_and_b32 s6, ttmp6, 15
	s_bfe_u32 s10, ttmp6, 0x40004
	s_mul_i32 s7, ttmp9, s7
	s_mul_i32 s9, s8, s9
	s_getreg_b32 s4, hwreg(HW_REG_IB_STS2, 6, 4)
	v_and_b32_e32 v1, 0x3ff, v0
	v_bfe_u32 v2, v0, 10, 10
	s_add_co_i32 s6, s6, s7
	s_add_co_i32 s10, s10, s9
	s_wait_kmcnt 0x0
	s_and_b32 s2, s2, 1
	s_lshr_b32 s7, s5, 16
	s_and_b32 s5, s5, 0xffff
	s_cmp_eq_u32 s4, 0
	s_cselect_b32 s6, ttmp9, s6
	s_cselect_b32 s8, s8, s10
	v_mad_u32 v0, s6, s5, v1
	v_mad_u32 v2, s8, s7, v2
	s_mov_b32 s5, 0
	s_cmp_eq_u32 s2, 0
	s_mov_b32 s2, -1
	s_cbranch_scc1 .LBB39_4
; %bb.1:
	s_and_not1_b32 vcc_lo, exec_lo, s2
	s_cbranch_vccz .LBB39_5
.LBB39_2:
	s_and_saveexec_b32 s2, s5
	s_cbranch_execnz .LBB39_6
.LBB39_3:
	s_endpgm
.LBB39_4:
	s_delay_alu instid0(VALU_DEP_2) | instskip(NEXT) | instid1(VALU_DEP_2)
	v_cmp_gt_i32_e32 vcc_lo, s3, v0
	v_cmp_le_i32_e64 s2, v2, v0
	s_and_b32 s5, vcc_lo, s2
	s_delay_alu instid0(SALU_CYCLE_1)
	s_and_b32 s5, s5, exec_lo
	s_cbranch_execnz .LBB39_2
.LBB39_5:
	s_delay_alu instid0(VALU_DEP_1) | instskip(NEXT) | instid1(VALU_DEP_3)
	v_cmp_gt_i32_e32 vcc_lo, s3, v2
	v_cmp_le_i32_e64 s2, v0, v2
	s_and_not1_b32 s3, s5, exec_lo
	s_and_b32 s2, vcc_lo, s2
	s_delay_alu instid0(SALU_CYCLE_1) | instskip(NEXT) | instid1(SALU_CYCLE_1)
	s_and_b32 s2, s2, exec_lo
	s_or_b32 s5, s3, s2
	s_delay_alu instid0(SALU_CYCLE_1)
	s_and_saveexec_b32 s2, s5
	s_cbranch_execz .LBB39_3
.LBB39_6:
	s_clause 0x1
	s_load_b64 s[2:3], s[0:1], 0x18
	s_load_b128 s[8:11], s[0:1], 0x8
	v_ashrrev_i32_e32 v3, 31, v2
	s_bfe_u32 s5, ttmp6, 0x40014
	s_lshr_b32 s6, ttmp7, 16
	s_add_co_i32 s5, s5, 1
	v_ashrrev_i32_e32 v1, 31, v0
	s_wait_kmcnt 0x0
	v_mul_u64_e32 v[4:5], s[2:3], v[2:3]
	s_mul_i32 s2, s6, s5
	s_bfe_u32 s3, ttmp6, 0x40008
	v_mov_b32_e32 v2, 0
	s_add_co_i32 s3, s3, s2
	s_cmp_eq_u32 s4, 0
	s_cselect_b32 s6, s6, s3
	s_load_b64 s[4:5], s[8:9], s6 offset:0x0 scale_offset
	s_load_b64 s[2:3], s[0:1], 0x28
	s_wait_xcnt 0x0
	s_lshl_b64 s[0:1], s[10:11], 1
	s_wait_kmcnt 0x0
	s_add_nc_u64 s[0:1], s[4:5], s[0:1]
	global_load_u8 v3, v2, s[2:3] offset:1
	v_lshl_add_u64 v[4:5], v[4:5], 1, s[0:1]
	s_delay_alu instid0(VALU_DEP_1)
	v_lshl_add_u64 v[0:1], v[0:1], 1, v[4:5]
	flat_load_u16 v0, v[0:1]
	s_wait_loadcnt 0x1
	v_readfirstlane_b32 s0, v3
	s_bitcmp1_b32 s0, 0
	s_cselect_b32 s0, -1, 0
	s_delay_alu instid0(SALU_CYCLE_1) | instskip(SKIP_3) | instid1(SALU_CYCLE_1)
	s_xor_b32 s0, s0, -1
	s_wait_loadcnt_dscnt 0x0
	v_cmp_eq_f16_e32 vcc_lo, 0, v0
	s_and_b32 s1, s0, vcc_lo
	s_and_saveexec_b32 s0, s1
	s_cbranch_execz .LBB39_8
; %bb.7:
	v_mov_b32_e32 v1, 1
	global_store_b8 v2, v1, s[2:3] offset:1
.LBB39_8:
	s_wait_xcnt 0x0
	s_or_b32 exec_lo, exec_lo, s0
	global_load_u8 v1, v2, s[2:3]
	s_wait_loadcnt 0x0
	v_and_b32_e32 v1, 1, v1
	s_delay_alu instid0(VALU_DEP_1)
	v_cmp_eq_u32_e32 vcc_lo, 1, v1
	s_cbranch_vccnz .LBB39_12
; %bb.9:
	v_and_b32_e32 v1, 0xffff, v0
	s_wait_xcnt 0x0
	s_delay_alu instid0(VALU_DEP_1) | instskip(SKIP_1) | instid1(VALU_DEP_2)
	v_and_b32_e32 v2, 0x7c00, v1
	v_and_b32_e32 v1, 0x3ff, v1
	v_cmp_eq_u32_e32 vcc_lo, 0x7c00, v2
	s_delay_alu instid0(VALU_DEP_2) | instskip(SKIP_1) | instid1(SALU_CYCLE_1)
	v_cmp_ne_u32_e64 s0, 0, v1
	s_and_b32 s1, vcc_lo, s0
	s_and_saveexec_b32 s0, s1
	s_cbranch_execz .LBB39_11
; %bb.10:
	v_dual_mov_b32 v1, 0 :: v_dual_mov_b32 v2, 1
	global_store_b8 v1, v2, s[2:3]
.LBB39_11:
	s_wait_xcnt 0x0
	s_or_b32 exec_lo, exec_lo, s0
.LBB39_12:
	v_mov_b32_e32 v1, 0
	global_load_u8 v2, v1, s[2:3] offset:2
	s_wait_loadcnt 0x0
	v_readfirstlane_b32 s0, v2
	s_bitcmp1_b32 s0, 0
	v_cmp_class_f16_e64 s0, v0, 0x204
	s_cselect_b32 s1, -1, 0
	s_delay_alu instid0(SALU_CYCLE_1) | instskip(NEXT) | instid1(SALU_CYCLE_1)
	s_xor_b32 s1, s1, -1
	s_and_b32 s1, s1, s0
	s_wait_xcnt 0x0
	s_and_saveexec_b32 s0, s1
	s_cbranch_execz .LBB39_14
; %bb.13:
	v_mov_b32_e32 v2, 1
	global_store_b8 v1, v2, s[2:3] offset:2
.LBB39_14:
	s_wait_xcnt 0x0
	s_or_b32 exec_lo, exec_lo, s0
	global_load_u8 v1, v1, s[2:3] offset:3
	s_wait_loadcnt 0x0
	v_and_b32_e32 v1, 1, v1
	s_delay_alu instid0(VALU_DEP_1)
	v_cmp_eq_u32_e32 vcc_lo, 1, v1
	s_cbranch_vccnz .LBB39_3
; %bb.15:
	v_and_b32_e32 v0, 0x7fff, v0
	s_delay_alu instid0(VALU_DEP_1) | instskip(NEXT) | instid1(VALU_DEP_1)
	v_add_nc_u16 v0, v0, -1
	v_cmp_gt_u16_e32 vcc_lo, 0x3ff, v0
	s_and_b32 exec_lo, exec_lo, vcc_lo
	s_cbranch_execz .LBB39_3
; %bb.16:
	v_dual_mov_b32 v0, 0 :: v_dual_mov_b32 v1, 1
	global_store_b8 v0, v1, s[2:3] offset:3
	s_endpgm
	.section	.rodata,"a",@progbits
	.p2align	6, 0x0
	.amdhsa_kernel _ZL49rocblas_check_numerics_sym_herm_tri_matrix_kernelILi16ELi16EPKPKDF16_EvbiT1_lllP24rocblas_check_numerics_s
		.amdhsa_group_segment_fixed_size 0
		.amdhsa_private_segment_fixed_size 0
		.amdhsa_kernarg_size 304
		.amdhsa_user_sgpr_count 2
		.amdhsa_user_sgpr_dispatch_ptr 0
		.amdhsa_user_sgpr_queue_ptr 0
		.amdhsa_user_sgpr_kernarg_segment_ptr 1
		.amdhsa_user_sgpr_dispatch_id 0
		.amdhsa_user_sgpr_kernarg_preload_length 0
		.amdhsa_user_sgpr_kernarg_preload_offset 0
		.amdhsa_user_sgpr_private_segment_size 0
		.amdhsa_wavefront_size32 1
		.amdhsa_uses_dynamic_stack 0
		.amdhsa_enable_private_segment 0
		.amdhsa_system_sgpr_workgroup_id_x 1
		.amdhsa_system_sgpr_workgroup_id_y 1
		.amdhsa_system_sgpr_workgroup_id_z 1
		.amdhsa_system_sgpr_workgroup_info 0
		.amdhsa_system_vgpr_workitem_id 1
		.amdhsa_next_free_vgpr 6
		.amdhsa_next_free_sgpr 12
		.amdhsa_named_barrier_count 0
		.amdhsa_reserve_vcc 1
		.amdhsa_float_round_mode_32 0
		.amdhsa_float_round_mode_16_64 0
		.amdhsa_float_denorm_mode_32 3
		.amdhsa_float_denorm_mode_16_64 3
		.amdhsa_fp16_overflow 0
		.amdhsa_memory_ordered 1
		.amdhsa_forward_progress 1
		.amdhsa_inst_pref_size 7
		.amdhsa_round_robin_scheduling 0
		.amdhsa_exception_fp_ieee_invalid_op 0
		.amdhsa_exception_fp_denorm_src 0
		.amdhsa_exception_fp_ieee_div_zero 0
		.amdhsa_exception_fp_ieee_overflow 0
		.amdhsa_exception_fp_ieee_underflow 0
		.amdhsa_exception_fp_ieee_inexact 0
		.amdhsa_exception_int_div_zero 0
	.end_amdhsa_kernel
	.section	.text._ZL49rocblas_check_numerics_sym_herm_tri_matrix_kernelILi16ELi16EPKPKDF16_EvbiT1_lllP24rocblas_check_numerics_s,"axG",@progbits,_ZL49rocblas_check_numerics_sym_herm_tri_matrix_kernelILi16ELi16EPKPKDF16_EvbiT1_lllP24rocblas_check_numerics_s,comdat
.Lfunc_end39:
	.size	_ZL49rocblas_check_numerics_sym_herm_tri_matrix_kernelILi16ELi16EPKPKDF16_EvbiT1_lllP24rocblas_check_numerics_s, .Lfunc_end39-_ZL49rocblas_check_numerics_sym_herm_tri_matrix_kernelILi16ELi16EPKPKDF16_EvbiT1_lllP24rocblas_check_numerics_s
                                        ; -- End function
	.set _ZL49rocblas_check_numerics_sym_herm_tri_matrix_kernelILi16ELi16EPKPKDF16_EvbiT1_lllP24rocblas_check_numerics_s.num_vgpr, 6
	.set _ZL49rocblas_check_numerics_sym_herm_tri_matrix_kernelILi16ELi16EPKPKDF16_EvbiT1_lllP24rocblas_check_numerics_s.num_agpr, 0
	.set _ZL49rocblas_check_numerics_sym_herm_tri_matrix_kernelILi16ELi16EPKPKDF16_EvbiT1_lllP24rocblas_check_numerics_s.numbered_sgpr, 12
	.set _ZL49rocblas_check_numerics_sym_herm_tri_matrix_kernelILi16ELi16EPKPKDF16_EvbiT1_lllP24rocblas_check_numerics_s.num_named_barrier, 0
	.set _ZL49rocblas_check_numerics_sym_herm_tri_matrix_kernelILi16ELi16EPKPKDF16_EvbiT1_lllP24rocblas_check_numerics_s.private_seg_size, 0
	.set _ZL49rocblas_check_numerics_sym_herm_tri_matrix_kernelILi16ELi16EPKPKDF16_EvbiT1_lllP24rocblas_check_numerics_s.uses_vcc, 1
	.set _ZL49rocblas_check_numerics_sym_herm_tri_matrix_kernelILi16ELi16EPKPKDF16_EvbiT1_lllP24rocblas_check_numerics_s.uses_flat_scratch, 0
	.set _ZL49rocblas_check_numerics_sym_herm_tri_matrix_kernelILi16ELi16EPKPKDF16_EvbiT1_lllP24rocblas_check_numerics_s.has_dyn_sized_stack, 0
	.set _ZL49rocblas_check_numerics_sym_herm_tri_matrix_kernelILi16ELi16EPKPKDF16_EvbiT1_lllP24rocblas_check_numerics_s.has_recursion, 0
	.set _ZL49rocblas_check_numerics_sym_herm_tri_matrix_kernelILi16ELi16EPKPKDF16_EvbiT1_lllP24rocblas_check_numerics_s.has_indirect_call, 0
	.section	.AMDGPU.csdata,"",@progbits
; Kernel info:
; codeLenInByte = 796
; TotalNumSgprs: 14
; NumVgprs: 6
; ScratchSize: 0
; MemoryBound: 0
; FloatMode: 240
; IeeeMode: 1
; LDSByteSize: 0 bytes/workgroup (compile time only)
; SGPRBlocks: 0
; VGPRBlocks: 0
; NumSGPRsForWavesPerEU: 14
; NumVGPRsForWavesPerEU: 6
; NamedBarCnt: 0
; Occupancy: 16
; WaveLimiterHint : 1
; COMPUTE_PGM_RSRC2:SCRATCH_EN: 0
; COMPUTE_PGM_RSRC2:USER_SGPR: 2
; COMPUTE_PGM_RSRC2:TRAP_HANDLER: 0
; COMPUTE_PGM_RSRC2:TGID_X_EN: 1
; COMPUTE_PGM_RSRC2:TGID_Y_EN: 1
; COMPUTE_PGM_RSRC2:TGID_Z_EN: 1
; COMPUTE_PGM_RSRC2:TIDIG_COMP_CNT: 1
	.section	.text._ZL39rocblas_check_numerics_ge_matrix_kernelILi16ELi16EP16rocblas_bfloat16EviiT1_lllP24rocblas_check_numerics_s,"axG",@progbits,_ZL39rocblas_check_numerics_ge_matrix_kernelILi16ELi16EP16rocblas_bfloat16EviiT1_lllP24rocblas_check_numerics_s,comdat
	.globl	_ZL39rocblas_check_numerics_ge_matrix_kernelILi16ELi16EP16rocblas_bfloat16EviiT1_lllP24rocblas_check_numerics_s ; -- Begin function _ZL39rocblas_check_numerics_ge_matrix_kernelILi16ELi16EP16rocblas_bfloat16EviiT1_lllP24rocblas_check_numerics_s
	.p2align	8
	.type	_ZL39rocblas_check_numerics_ge_matrix_kernelILi16ELi16EP16rocblas_bfloat16EviiT1_lllP24rocblas_check_numerics_s,@function
_ZL39rocblas_check_numerics_ge_matrix_kernelILi16ELi16EP16rocblas_bfloat16EviiT1_lllP24rocblas_check_numerics_s: ; @_ZL39rocblas_check_numerics_ge_matrix_kernelILi16ELi16EP16rocblas_bfloat16EviiT1_lllP24rocblas_check_numerics_s
; %bb.0:
	s_clause 0x1
	s_load_b32 s2, s[0:1], 0x3c
	s_load_b64 s[4:5], s[0:1], 0x0
	s_bfe_u32 s7, ttmp6, 0x40010
	s_bfe_u32 s10, ttmp6, 0x4000c
	s_and_b32 s6, ttmp7, 0xffff
	s_add_co_i32 s7, s7, 1
	s_add_co_i32 s10, s10, 1
	s_bfe_u32 s8, ttmp6, 0x40004
	s_and_b32 s9, ttmp6, 15
	s_mul_i32 s7, s6, s7
	s_mul_i32 s10, ttmp9, s10
	s_getreg_b32 s3, hwreg(HW_REG_IB_STS2, 6, 4)
	v_and_b32_e32 v1, 0x3ff, v0
	v_bfe_u32 v2, v0, 10, 10
	s_add_co_i32 s8, s8, s7
	s_add_co_i32 s9, s9, s10
	s_mov_b32 s13, 0
	s_wait_kmcnt 0x0
	s_lshr_b32 s7, s2, 16
	s_and_b32 s2, s2, 0xffff
	s_cmp_eq_u32 s3, 0
	s_cselect_b32 s9, ttmp9, s9
	s_cselect_b32 s6, s6, s8
	v_mad_u32 v0, s9, s2, v1
	v_mad_u32 v2, s6, s7, v2
	s_delay_alu instid0(VALU_DEP_2) | instskip(NEXT) | instid1(VALU_DEP_2)
	v_cmp_gt_i32_e32 vcc_lo, s4, v0
	v_cmp_gt_i32_e64 s2, s5, v2
	s_and_b32 s2, vcc_lo, s2
	s_delay_alu instid0(SALU_CYCLE_1)
	s_and_saveexec_b32 s4, s2
	s_cbranch_execz .LBB40_11
; %bb.1:
	s_load_b256 s[4:11], s[0:1], 0x8
	v_dual_ashrrev_i32 v3, 31, v2 :: v_dual_ashrrev_i32 v1, 31, v0
	s_bfe_u32 s2, ttmp6, 0x40014
	s_delay_alu instid0(SALU_CYCLE_1) | instskip(SKIP_1) | instid1(VALU_DEP_1)
	s_add_co_i32 s2, s2, 1
	s_wait_kmcnt 0x0
	v_mul_u64_e32 v[2:3], s[8:9], v[2:3]
	s_lshr_b32 s8, ttmp7, 16
	s_bfe_u32 s9, ttmp6, 0x40008
	s_mul_i32 s2, s8, s2
	s_delay_alu instid0(SALU_CYCLE_1)
	s_add_co_i32 s9, s9, s2
	s_cmp_eq_u32 s3, 0
	s_load_b64 s[2:3], s[0:1], 0x28
	s_cselect_b32 s12, s8, s9
	s_wait_xcnt 0x0
	s_mul_u64 s[0:1], s[10:11], s[12:13]
	s_delay_alu instid0(SALU_CYCLE_1) | instskip(NEXT) | instid1(SALU_CYCLE_1)
	s_lshl_b64 s[0:1], s[0:1], 1
	s_add_nc_u64 s[0:1], s[4:5], s[0:1]
	s_lshl_b64 s[4:5], s[6:7], 1
	s_delay_alu instid0(SALU_CYCLE_1)
	s_add_nc_u64 s[0:1], s[0:1], s[4:5]
	s_delay_alu instid0(VALU_DEP_1) | instid1(SALU_CYCLE_1)
	v_lshl_add_u64 v[4:5], v[2:3], 1, s[0:1]
	v_mov_b32_e32 v2, 0
	s_delay_alu instid0(VALU_DEP_2)
	v_lshl_add_u64 v[4:5], v[0:1], 1, v[4:5]
	s_wait_kmcnt 0x0
	global_load_u8 v0, v2, s[2:3] offset:1
	global_load_u16 v1, v[4:5], off
	s_wait_loadcnt 0x1
	v_readfirstlane_b32 s0, v0
	s_wait_loadcnt 0x0
	v_and_b32_e32 v0, 0x7fff, v1
	s_bitcmp1_b32 s0, 0
	s_delay_alu instid0(VALU_DEP_1) | instskip(SKIP_1) | instid1(SALU_CYCLE_1)
	v_cmp_eq_u16_e32 vcc_lo, 0, v0
	s_cselect_b32 s0, -1, 0
	s_xor_b32 s0, s0, -1
	s_delay_alu instid0(SALU_CYCLE_1) | instskip(NEXT) | instid1(SALU_CYCLE_1)
	s_and_b32 s1, s0, vcc_lo
	s_and_saveexec_b32 s0, s1
	s_cbranch_execz .LBB40_3
; %bb.2:
	v_mov_b32_e32 v3, 1
	global_store_b8 v2, v3, s[2:3] offset:1
.LBB40_3:
	s_wait_xcnt 0x0
	s_or_b32 exec_lo, exec_lo, s0
	global_load_u8 v2, v2, s[2:3]
	s_wait_loadcnt 0x0
	v_and_b32_e32 v2, 1, v2
	s_delay_alu instid0(VALU_DEP_1)
	v_cmp_eq_u32_e32 vcc_lo, 1, v2
	s_cbranch_vccnz .LBB40_7
; %bb.4:
	v_and_b32_e32 v1, 0xffff, v1
	s_delay_alu instid0(VALU_DEP_1) | instskip(SKIP_1) | instid1(VALU_DEP_2)
	v_and_b32_e32 v2, 0x7f80, v1
	v_and_b32_e32 v1, 0x7f, v1
	v_cmp_eq_u32_e32 vcc_lo, 0x7f80, v2
	s_delay_alu instid0(VALU_DEP_2) | instskip(SKIP_1) | instid1(SALU_CYCLE_1)
	v_cmp_ne_u32_e64 s0, 0, v1
	s_and_b32 s1, vcc_lo, s0
	s_and_saveexec_b32 s0, s1
	s_cbranch_execz .LBB40_6
; %bb.5:
	v_dual_mov_b32 v1, 0 :: v_dual_mov_b32 v2, 1
	global_store_b8 v1, v2, s[2:3]
.LBB40_6:
	s_wait_xcnt 0x0
	s_or_b32 exec_lo, exec_lo, s0
.LBB40_7:
	v_mov_b32_e32 v1, 0
	v_cmp_eq_u16_e32 vcc_lo, 0x7f80, v0
	global_load_u8 v2, v1, s[2:3] offset:2
	s_wait_loadcnt 0x0
	v_readfirstlane_b32 s0, v2
	s_bitcmp1_b32 s0, 0
	s_cselect_b32 s0, -1, 0
	s_delay_alu instid0(SALU_CYCLE_1) | instskip(NEXT) | instid1(SALU_CYCLE_1)
	s_xor_b32 s0, s0, -1
	s_and_b32 s1, s0, vcc_lo
	s_wait_xcnt 0x0
	s_and_saveexec_b32 s0, s1
	s_cbranch_execz .LBB40_9
; %bb.8:
	v_mov_b32_e32 v2, 1
	global_store_b8 v1, v2, s[2:3] offset:2
.LBB40_9:
	s_wait_xcnt 0x0
	s_or_b32 exec_lo, exec_lo, s0
	global_load_u8 v1, v1, s[2:3] offset:3
	v_add_nc_u16 v0, 0xff80, v0
	s_delay_alu instid0(VALU_DEP_1) | instskip(SKIP_4) | instid1(SALU_CYCLE_1)
	v_cmp_lt_u16_e32 vcc_lo, 0xff80, v0
	s_wait_loadcnt 0x0
	v_readfirstlane_b32 s0, v1
	s_bitcmp1_b32 s0, 0
	s_cselect_b32 s0, -1, 0
	s_xor_b32 s0, s0, -1
	s_delay_alu instid0(SALU_CYCLE_1)
	s_and_b32 s0, s0, vcc_lo
	s_wait_xcnt 0x0
	s_and_b32 exec_lo, exec_lo, s0
	s_cbranch_execz .LBB40_11
; %bb.10:
	v_dual_mov_b32 v0, 0 :: v_dual_mov_b32 v1, 1
	global_store_b8 v0, v1, s[2:3] offset:3
.LBB40_11:
	s_endpgm
	.section	.rodata,"a",@progbits
	.p2align	6, 0x0
	.amdhsa_kernel _ZL39rocblas_check_numerics_ge_matrix_kernelILi16ELi16EP16rocblas_bfloat16EviiT1_lllP24rocblas_check_numerics_s
		.amdhsa_group_segment_fixed_size 0
		.amdhsa_private_segment_fixed_size 0
		.amdhsa_kernarg_size 304
		.amdhsa_user_sgpr_count 2
		.amdhsa_user_sgpr_dispatch_ptr 0
		.amdhsa_user_sgpr_queue_ptr 0
		.amdhsa_user_sgpr_kernarg_segment_ptr 1
		.amdhsa_user_sgpr_dispatch_id 0
		.amdhsa_user_sgpr_kernarg_preload_length 0
		.amdhsa_user_sgpr_kernarg_preload_offset 0
		.amdhsa_user_sgpr_private_segment_size 0
		.amdhsa_wavefront_size32 1
		.amdhsa_uses_dynamic_stack 0
		.amdhsa_enable_private_segment 0
		.amdhsa_system_sgpr_workgroup_id_x 1
		.amdhsa_system_sgpr_workgroup_id_y 1
		.amdhsa_system_sgpr_workgroup_id_z 1
		.amdhsa_system_sgpr_workgroup_info 0
		.amdhsa_system_vgpr_workitem_id 1
		.amdhsa_next_free_vgpr 6
		.amdhsa_next_free_sgpr 14
		.amdhsa_named_barrier_count 0
		.amdhsa_reserve_vcc 1
		.amdhsa_float_round_mode_32 0
		.amdhsa_float_round_mode_16_64 0
		.amdhsa_float_denorm_mode_32 3
		.amdhsa_float_denorm_mode_16_64 3
		.amdhsa_fp16_overflow 0
		.amdhsa_memory_ordered 1
		.amdhsa_forward_progress 1
		.amdhsa_inst_pref_size 6
		.amdhsa_round_robin_scheduling 0
		.amdhsa_exception_fp_ieee_invalid_op 0
		.amdhsa_exception_fp_denorm_src 0
		.amdhsa_exception_fp_ieee_div_zero 0
		.amdhsa_exception_fp_ieee_overflow 0
		.amdhsa_exception_fp_ieee_underflow 0
		.amdhsa_exception_fp_ieee_inexact 0
		.amdhsa_exception_int_div_zero 0
	.end_amdhsa_kernel
	.section	.text._ZL39rocblas_check_numerics_ge_matrix_kernelILi16ELi16EP16rocblas_bfloat16EviiT1_lllP24rocblas_check_numerics_s,"axG",@progbits,_ZL39rocblas_check_numerics_ge_matrix_kernelILi16ELi16EP16rocblas_bfloat16EviiT1_lllP24rocblas_check_numerics_s,comdat
.Lfunc_end40:
	.size	_ZL39rocblas_check_numerics_ge_matrix_kernelILi16ELi16EP16rocblas_bfloat16EviiT1_lllP24rocblas_check_numerics_s, .Lfunc_end40-_ZL39rocblas_check_numerics_ge_matrix_kernelILi16ELi16EP16rocblas_bfloat16EviiT1_lllP24rocblas_check_numerics_s
                                        ; -- End function
	.set _ZL39rocblas_check_numerics_ge_matrix_kernelILi16ELi16EP16rocblas_bfloat16EviiT1_lllP24rocblas_check_numerics_s.num_vgpr, 6
	.set _ZL39rocblas_check_numerics_ge_matrix_kernelILi16ELi16EP16rocblas_bfloat16EviiT1_lllP24rocblas_check_numerics_s.num_agpr, 0
	.set _ZL39rocblas_check_numerics_ge_matrix_kernelILi16ELi16EP16rocblas_bfloat16EviiT1_lllP24rocblas_check_numerics_s.numbered_sgpr, 14
	.set _ZL39rocblas_check_numerics_ge_matrix_kernelILi16ELi16EP16rocblas_bfloat16EviiT1_lllP24rocblas_check_numerics_s.num_named_barrier, 0
	.set _ZL39rocblas_check_numerics_ge_matrix_kernelILi16ELi16EP16rocblas_bfloat16EviiT1_lllP24rocblas_check_numerics_s.private_seg_size, 0
	.set _ZL39rocblas_check_numerics_ge_matrix_kernelILi16ELi16EP16rocblas_bfloat16EviiT1_lllP24rocblas_check_numerics_s.uses_vcc, 1
	.set _ZL39rocblas_check_numerics_ge_matrix_kernelILi16ELi16EP16rocblas_bfloat16EviiT1_lllP24rocblas_check_numerics_s.uses_flat_scratch, 0
	.set _ZL39rocblas_check_numerics_ge_matrix_kernelILi16ELi16EP16rocblas_bfloat16EviiT1_lllP24rocblas_check_numerics_s.has_dyn_sized_stack, 0
	.set _ZL39rocblas_check_numerics_ge_matrix_kernelILi16ELi16EP16rocblas_bfloat16EviiT1_lllP24rocblas_check_numerics_s.has_recursion, 0
	.set _ZL39rocblas_check_numerics_ge_matrix_kernelILi16ELi16EP16rocblas_bfloat16EviiT1_lllP24rocblas_check_numerics_s.has_indirect_call, 0
	.section	.AMDGPU.csdata,"",@progbits
; Kernel info:
; codeLenInByte = 740
; TotalNumSgprs: 16
; NumVgprs: 6
; ScratchSize: 0
; MemoryBound: 0
; FloatMode: 240
; IeeeMode: 1
; LDSByteSize: 0 bytes/workgroup (compile time only)
; SGPRBlocks: 0
; VGPRBlocks: 0
; NumSGPRsForWavesPerEU: 16
; NumVGPRsForWavesPerEU: 6
; NamedBarCnt: 0
; Occupancy: 16
; WaveLimiterHint : 0
; COMPUTE_PGM_RSRC2:SCRATCH_EN: 0
; COMPUTE_PGM_RSRC2:USER_SGPR: 2
; COMPUTE_PGM_RSRC2:TRAP_HANDLER: 0
; COMPUTE_PGM_RSRC2:TGID_X_EN: 1
; COMPUTE_PGM_RSRC2:TGID_Y_EN: 1
; COMPUTE_PGM_RSRC2:TGID_Z_EN: 1
; COMPUTE_PGM_RSRC2:TIDIG_COMP_CNT: 1
	.section	.text._ZL49rocblas_check_numerics_sym_herm_tri_matrix_kernelILi16ELi16EP16rocblas_bfloat16EvbiT1_lllP24rocblas_check_numerics_s,"axG",@progbits,_ZL49rocblas_check_numerics_sym_herm_tri_matrix_kernelILi16ELi16EP16rocblas_bfloat16EvbiT1_lllP24rocblas_check_numerics_s,comdat
	.globl	_ZL49rocblas_check_numerics_sym_herm_tri_matrix_kernelILi16ELi16EP16rocblas_bfloat16EvbiT1_lllP24rocblas_check_numerics_s ; -- Begin function _ZL49rocblas_check_numerics_sym_herm_tri_matrix_kernelILi16ELi16EP16rocblas_bfloat16EvbiT1_lllP24rocblas_check_numerics_s
	.p2align	8
	.type	_ZL49rocblas_check_numerics_sym_herm_tri_matrix_kernelILi16ELi16EP16rocblas_bfloat16EvbiT1_lllP24rocblas_check_numerics_s,@function
_ZL49rocblas_check_numerics_sym_herm_tri_matrix_kernelILi16ELi16EP16rocblas_bfloat16EvbiT1_lllP24rocblas_check_numerics_s: ; @_ZL49rocblas_check_numerics_sym_herm_tri_matrix_kernelILi16ELi16EP16rocblas_bfloat16EvbiT1_lllP24rocblas_check_numerics_s
; %bb.0:
	s_clause 0x1
	s_load_b64 s[2:3], s[0:1], 0x0
	s_load_b32 s4, s[0:1], 0x3c
	s_bfe_u32 s6, ttmp6, 0x4000c
	s_bfe_u32 s8, ttmp6, 0x40010
	s_and_b32 s7, ttmp7, 0xffff
	s_add_co_i32 s6, s6, 1
	s_add_co_i32 s8, s8, 1
	s_and_b32 s5, ttmp6, 15
	s_bfe_u32 s9, ttmp6, 0x40004
	s_mul_i32 s6, ttmp9, s6
	s_mul_i32 s8, s7, s8
	s_getreg_b32 s12, hwreg(HW_REG_IB_STS2, 6, 4)
	v_and_b32_e32 v1, 0x3ff, v0
	v_bfe_u32 v2, v0, 10, 10
	s_add_co_i32 s5, s5, s6
	s_add_co_i32 s9, s9, s8
	s_wait_kmcnt 0x0
	s_and_b32 s2, s2, 1
	s_lshr_b32 s6, s4, 16
	s_and_b32 s4, s4, 0xffff
	s_cmp_eq_u32 s12, 0
	s_cselect_b32 s5, ttmp9, s5
	s_cselect_b32 s7, s7, s9
	v_mad_u32 v0, s5, s4, v1
	v_mad_u32 v2, s7, s6, v2
	s_mov_b32 s4, 0
	s_cmp_eq_u32 s2, 0
	s_mov_b32 s2, -1
	s_cbranch_scc1 .LBB41_4
; %bb.1:
	s_and_not1_b32 vcc_lo, exec_lo, s2
	s_cbranch_vccz .LBB41_5
.LBB41_2:
	s_and_saveexec_b32 s2, s4
	s_cbranch_execnz .LBB41_6
.LBB41_3:
	s_endpgm
.LBB41_4:
	s_delay_alu instid0(VALU_DEP_2) | instskip(NEXT) | instid1(VALU_DEP_2)
	v_cmp_gt_i32_e32 vcc_lo, s3, v0
	v_cmp_le_i32_e64 s2, v2, v0
	s_and_b32 s4, vcc_lo, s2
	s_delay_alu instid0(SALU_CYCLE_1)
	s_and_b32 s4, s4, exec_lo
	s_cbranch_execnz .LBB41_2
.LBB41_5:
	s_delay_alu instid0(VALU_DEP_1) | instskip(NEXT) | instid1(VALU_DEP_3)
	v_cmp_gt_i32_e32 vcc_lo, s3, v2
	v_cmp_le_i32_e64 s2, v0, v2
	s_and_not1_b32 s3, s4, exec_lo
	s_and_b32 s2, vcc_lo, s2
	s_delay_alu instid0(SALU_CYCLE_1) | instskip(NEXT) | instid1(SALU_CYCLE_1)
	s_and_b32 s2, s2, exec_lo
	s_or_b32 s4, s3, s2
	s_delay_alu instid0(SALU_CYCLE_1)
	s_and_saveexec_b32 s2, s4
	s_cbranch_execz .LBB41_3
.LBB41_6:
	s_load_b256 s[4:11], s[0:1], 0x8
	s_delay_alu instid0(VALU_DEP_1)
	v_dual_ashrrev_i32 v3, 31, v2 :: v_dual_ashrrev_i32 v1, 31, v0
	s_bfe_u32 s2, ttmp6, 0x40014
	s_bfe_u32 s13, ttmp6, 0x40008
	s_add_co_i32 s2, s2, 1
	s_wait_kmcnt 0x0
	v_mul_u64_e32 v[2:3], s[8:9], v[2:3]
	s_lshr_b32 s8, ttmp7, 16
	s_delay_alu instid0(SALU_CYCLE_1)
	s_mul_i32 s9, s8, s2
	s_load_b64 s[2:3], s[0:1], 0x28
	s_add_co_i32 s13, s13, s9
	s_cmp_eq_u32 s12, 0
	s_wait_xcnt 0x0
	s_mov_b32 s1, 0
	s_cselect_b32 s0, s8, s13
	s_delay_alu instid0(SALU_CYCLE_1) | instskip(NEXT) | instid1(SALU_CYCLE_1)
	s_mul_u64 s[0:1], s[10:11], s[0:1]
	s_lshl_b64 s[0:1], s[0:1], 1
	s_delay_alu instid0(SALU_CYCLE_1) | instskip(SKIP_1) | instid1(SALU_CYCLE_1)
	s_add_nc_u64 s[0:1], s[4:5], s[0:1]
	s_lshl_b64 s[4:5], s[6:7], 1
	s_add_nc_u64 s[0:1], s[0:1], s[4:5]
	s_delay_alu instid0(VALU_DEP_1) | instid1(SALU_CYCLE_1)
	v_lshl_add_u64 v[4:5], v[2:3], 1, s[0:1]
	v_mov_b32_e32 v2, 0
	s_delay_alu instid0(VALU_DEP_2)
	v_lshl_add_u64 v[4:5], v[0:1], 1, v[4:5]
	s_wait_kmcnt 0x0
	global_load_u8 v0, v2, s[2:3] offset:1
	global_load_u16 v1, v[4:5], off
	s_wait_loadcnt 0x1
	v_readfirstlane_b32 s0, v0
	s_wait_loadcnt 0x0
	v_and_b32_e32 v0, 0x7fff, v1
	s_bitcmp1_b32 s0, 0
	s_delay_alu instid0(VALU_DEP_1) | instskip(SKIP_1) | instid1(SALU_CYCLE_1)
	v_cmp_eq_u16_e32 vcc_lo, 0, v0
	s_cselect_b32 s0, -1, 0
	s_xor_b32 s0, s0, -1
	s_delay_alu instid0(SALU_CYCLE_1) | instskip(NEXT) | instid1(SALU_CYCLE_1)
	s_and_b32 s1, s0, vcc_lo
	s_and_saveexec_b32 s0, s1
	s_cbranch_execz .LBB41_8
; %bb.7:
	v_mov_b32_e32 v3, 1
	global_store_b8 v2, v3, s[2:3] offset:1
.LBB41_8:
	s_wait_xcnt 0x0
	s_or_b32 exec_lo, exec_lo, s0
	global_load_u8 v2, v2, s[2:3]
	s_wait_loadcnt 0x0
	v_and_b32_e32 v2, 1, v2
	s_delay_alu instid0(VALU_DEP_1)
	v_cmp_eq_u32_e32 vcc_lo, 1, v2
	s_cbranch_vccnz .LBB41_12
; %bb.9:
	v_and_b32_e32 v1, 0xffff, v1
	s_delay_alu instid0(VALU_DEP_1) | instskip(SKIP_1) | instid1(VALU_DEP_2)
	v_and_b32_e32 v2, 0x7f80, v1
	v_and_b32_e32 v1, 0x7f, v1
	v_cmp_eq_u32_e32 vcc_lo, 0x7f80, v2
	s_delay_alu instid0(VALU_DEP_2) | instskip(SKIP_1) | instid1(SALU_CYCLE_1)
	v_cmp_ne_u32_e64 s0, 0, v1
	s_and_b32 s1, vcc_lo, s0
	s_and_saveexec_b32 s0, s1
	s_cbranch_execz .LBB41_11
; %bb.10:
	v_dual_mov_b32 v1, 0 :: v_dual_mov_b32 v2, 1
	global_store_b8 v1, v2, s[2:3]
.LBB41_11:
	s_wait_xcnt 0x0
	s_or_b32 exec_lo, exec_lo, s0
.LBB41_12:
	v_mov_b32_e32 v1, 0
	v_cmp_eq_u16_e32 vcc_lo, 0x7f80, v0
	global_load_u8 v2, v1, s[2:3] offset:2
	s_wait_loadcnt 0x0
	v_readfirstlane_b32 s0, v2
	s_bitcmp1_b32 s0, 0
	s_cselect_b32 s0, -1, 0
	s_delay_alu instid0(SALU_CYCLE_1) | instskip(NEXT) | instid1(SALU_CYCLE_1)
	s_xor_b32 s0, s0, -1
	s_and_b32 s1, s0, vcc_lo
	s_wait_xcnt 0x0
	s_and_saveexec_b32 s0, s1
	s_cbranch_execz .LBB41_14
; %bb.13:
	v_mov_b32_e32 v2, 1
	global_store_b8 v1, v2, s[2:3] offset:2
.LBB41_14:
	s_wait_xcnt 0x0
	s_or_b32 exec_lo, exec_lo, s0
	global_load_u8 v1, v1, s[2:3] offset:3
	v_add_nc_u16 v0, 0xff80, v0
	s_delay_alu instid0(VALU_DEP_1) | instskip(SKIP_4) | instid1(SALU_CYCLE_1)
	v_cmp_lt_u16_e32 vcc_lo, 0xff80, v0
	s_wait_loadcnt 0x0
	v_readfirstlane_b32 s0, v1
	s_bitcmp1_b32 s0, 0
	s_cselect_b32 s0, -1, 0
	s_xor_b32 s0, s0, -1
	s_delay_alu instid0(SALU_CYCLE_1)
	s_and_b32 s0, s0, vcc_lo
	s_wait_xcnt 0x0
	s_and_b32 exec_lo, exec_lo, s0
	s_cbranch_execz .LBB41_3
; %bb.15:
	v_dual_mov_b32 v0, 0 :: v_dual_mov_b32 v1, 1
	global_store_b8 v0, v1, s[2:3] offset:3
	s_endpgm
	.section	.rodata,"a",@progbits
	.p2align	6, 0x0
	.amdhsa_kernel _ZL49rocblas_check_numerics_sym_herm_tri_matrix_kernelILi16ELi16EP16rocblas_bfloat16EvbiT1_lllP24rocblas_check_numerics_s
		.amdhsa_group_segment_fixed_size 0
		.amdhsa_private_segment_fixed_size 0
		.amdhsa_kernarg_size 304
		.amdhsa_user_sgpr_count 2
		.amdhsa_user_sgpr_dispatch_ptr 0
		.amdhsa_user_sgpr_queue_ptr 0
		.amdhsa_user_sgpr_kernarg_segment_ptr 1
		.amdhsa_user_sgpr_dispatch_id 0
		.amdhsa_user_sgpr_kernarg_preload_length 0
		.amdhsa_user_sgpr_kernarg_preload_offset 0
		.amdhsa_user_sgpr_private_segment_size 0
		.amdhsa_wavefront_size32 1
		.amdhsa_uses_dynamic_stack 0
		.amdhsa_enable_private_segment 0
		.amdhsa_system_sgpr_workgroup_id_x 1
		.amdhsa_system_sgpr_workgroup_id_y 1
		.amdhsa_system_sgpr_workgroup_id_z 1
		.amdhsa_system_sgpr_workgroup_info 0
		.amdhsa_system_vgpr_workitem_id 1
		.amdhsa_next_free_vgpr 6
		.amdhsa_next_free_sgpr 14
		.amdhsa_named_barrier_count 0
		.amdhsa_reserve_vcc 1
		.amdhsa_float_round_mode_32 0
		.amdhsa_float_round_mode_16_64 0
		.amdhsa_float_denorm_mode_32 3
		.amdhsa_float_denorm_mode_16_64 3
		.amdhsa_fp16_overflow 0
		.amdhsa_memory_ordered 1
		.amdhsa_forward_progress 1
		.amdhsa_inst_pref_size 7
		.amdhsa_round_robin_scheduling 0
		.amdhsa_exception_fp_ieee_invalid_op 0
		.amdhsa_exception_fp_denorm_src 0
		.amdhsa_exception_fp_ieee_div_zero 0
		.amdhsa_exception_fp_ieee_overflow 0
		.amdhsa_exception_fp_ieee_underflow 0
		.amdhsa_exception_fp_ieee_inexact 0
		.amdhsa_exception_int_div_zero 0
	.end_amdhsa_kernel
	.section	.text._ZL49rocblas_check_numerics_sym_herm_tri_matrix_kernelILi16ELi16EP16rocblas_bfloat16EvbiT1_lllP24rocblas_check_numerics_s,"axG",@progbits,_ZL49rocblas_check_numerics_sym_herm_tri_matrix_kernelILi16ELi16EP16rocblas_bfloat16EvbiT1_lllP24rocblas_check_numerics_s,comdat
.Lfunc_end41:
	.size	_ZL49rocblas_check_numerics_sym_herm_tri_matrix_kernelILi16ELi16EP16rocblas_bfloat16EvbiT1_lllP24rocblas_check_numerics_s, .Lfunc_end41-_ZL49rocblas_check_numerics_sym_herm_tri_matrix_kernelILi16ELi16EP16rocblas_bfloat16EvbiT1_lllP24rocblas_check_numerics_s
                                        ; -- End function
	.set _ZL49rocblas_check_numerics_sym_herm_tri_matrix_kernelILi16ELi16EP16rocblas_bfloat16EvbiT1_lllP24rocblas_check_numerics_s.num_vgpr, 6
	.set _ZL49rocblas_check_numerics_sym_herm_tri_matrix_kernelILi16ELi16EP16rocblas_bfloat16EvbiT1_lllP24rocblas_check_numerics_s.num_agpr, 0
	.set _ZL49rocblas_check_numerics_sym_herm_tri_matrix_kernelILi16ELi16EP16rocblas_bfloat16EvbiT1_lllP24rocblas_check_numerics_s.numbered_sgpr, 14
	.set _ZL49rocblas_check_numerics_sym_herm_tri_matrix_kernelILi16ELi16EP16rocblas_bfloat16EvbiT1_lllP24rocblas_check_numerics_s.num_named_barrier, 0
	.set _ZL49rocblas_check_numerics_sym_herm_tri_matrix_kernelILi16ELi16EP16rocblas_bfloat16EvbiT1_lllP24rocblas_check_numerics_s.private_seg_size, 0
	.set _ZL49rocblas_check_numerics_sym_herm_tri_matrix_kernelILi16ELi16EP16rocblas_bfloat16EvbiT1_lllP24rocblas_check_numerics_s.uses_vcc, 1
	.set _ZL49rocblas_check_numerics_sym_herm_tri_matrix_kernelILi16ELi16EP16rocblas_bfloat16EvbiT1_lllP24rocblas_check_numerics_s.uses_flat_scratch, 0
	.set _ZL49rocblas_check_numerics_sym_herm_tri_matrix_kernelILi16ELi16EP16rocblas_bfloat16EvbiT1_lllP24rocblas_check_numerics_s.has_dyn_sized_stack, 0
	.set _ZL49rocblas_check_numerics_sym_herm_tri_matrix_kernelILi16ELi16EP16rocblas_bfloat16EvbiT1_lllP24rocblas_check_numerics_s.has_recursion, 0
	.set _ZL49rocblas_check_numerics_sym_herm_tri_matrix_kernelILi16ELi16EP16rocblas_bfloat16EvbiT1_lllP24rocblas_check_numerics_s.has_indirect_call, 0
	.section	.AMDGPU.csdata,"",@progbits
; Kernel info:
; codeLenInByte = 828
; TotalNumSgprs: 16
; NumVgprs: 6
; ScratchSize: 0
; MemoryBound: 0
; FloatMode: 240
; IeeeMode: 1
; LDSByteSize: 0 bytes/workgroup (compile time only)
; SGPRBlocks: 0
; VGPRBlocks: 0
; NumSGPRsForWavesPerEU: 16
; NumVGPRsForWavesPerEU: 6
; NamedBarCnt: 0
; Occupancy: 16
; WaveLimiterHint : 0
; COMPUTE_PGM_RSRC2:SCRATCH_EN: 0
; COMPUTE_PGM_RSRC2:USER_SGPR: 2
; COMPUTE_PGM_RSRC2:TRAP_HANDLER: 0
; COMPUTE_PGM_RSRC2:TGID_X_EN: 1
; COMPUTE_PGM_RSRC2:TGID_Y_EN: 1
; COMPUTE_PGM_RSRC2:TGID_Z_EN: 1
; COMPUTE_PGM_RSRC2:TIDIG_COMP_CNT: 1
	.section	.text._ZL39rocblas_check_numerics_ge_matrix_kernelILi16ELi16EPKP16rocblas_bfloat16EviiT1_lllP24rocblas_check_numerics_s,"axG",@progbits,_ZL39rocblas_check_numerics_ge_matrix_kernelILi16ELi16EPKP16rocblas_bfloat16EviiT1_lllP24rocblas_check_numerics_s,comdat
	.globl	_ZL39rocblas_check_numerics_ge_matrix_kernelILi16ELi16EPKP16rocblas_bfloat16EviiT1_lllP24rocblas_check_numerics_s ; -- Begin function _ZL39rocblas_check_numerics_ge_matrix_kernelILi16ELi16EPKP16rocblas_bfloat16EviiT1_lllP24rocblas_check_numerics_s
	.p2align	8
	.type	_ZL39rocblas_check_numerics_ge_matrix_kernelILi16ELi16EPKP16rocblas_bfloat16EviiT1_lllP24rocblas_check_numerics_s,@function
_ZL39rocblas_check_numerics_ge_matrix_kernelILi16ELi16EPKP16rocblas_bfloat16EviiT1_lllP24rocblas_check_numerics_s: ; @_ZL39rocblas_check_numerics_ge_matrix_kernelILi16ELi16EPKP16rocblas_bfloat16EviiT1_lllP24rocblas_check_numerics_s
; %bb.0:
	s_clause 0x1
	s_load_b32 s2, s[0:1], 0x3c
	s_load_b64 s[4:5], s[0:1], 0x0
	s_bfe_u32 s7, ttmp6, 0x40010
	s_bfe_u32 s10, ttmp6, 0x4000c
	s_and_b32 s6, ttmp7, 0xffff
	s_add_co_i32 s7, s7, 1
	s_add_co_i32 s10, s10, 1
	s_bfe_u32 s8, ttmp6, 0x40004
	s_and_b32 s9, ttmp6, 15
	s_mul_i32 s7, s6, s7
	s_mul_i32 s10, ttmp9, s10
	s_getreg_b32 s3, hwreg(HW_REG_IB_STS2, 6, 4)
	v_and_b32_e32 v1, 0x3ff, v0
	v_bfe_u32 v2, v0, 10, 10
	s_add_co_i32 s8, s8, s7
	s_add_co_i32 s9, s9, s10
	s_wait_kmcnt 0x0
	s_lshr_b32 s7, s2, 16
	s_and_b32 s2, s2, 0xffff
	s_cmp_eq_u32 s3, 0
	s_cselect_b32 s9, ttmp9, s9
	s_cselect_b32 s6, s6, s8
	v_mad_u32 v0, s9, s2, v1
	v_mad_u32 v2, s6, s7, v2
	s_delay_alu instid0(VALU_DEP_2) | instskip(NEXT) | instid1(VALU_DEP_2)
	v_cmp_gt_i32_e32 vcc_lo, s4, v0
	v_cmp_gt_i32_e64 s2, s5, v2
	s_and_b32 s2, vcc_lo, s2
	s_delay_alu instid0(SALU_CYCLE_1)
	s_and_saveexec_b32 s4, s2
	s_cbranch_execz .LBB42_11
; %bb.1:
	s_clause 0x1
	s_load_b64 s[8:9], s[0:1], 0x18
	s_load_b128 s[4:7], s[0:1], 0x8
	v_dual_ashrrev_i32 v3, 31, v2 :: v_dual_ashrrev_i32 v1, 31, v0
	s_bfe_u32 s2, ttmp6, 0x40014
	s_lshr_b32 s10, ttmp7, 16
	s_add_co_i32 s2, s2, 1
	s_delay_alu instid0(SALU_CYCLE_1) | instskip(SKIP_3) | instid1(SALU_CYCLE_1)
	s_mul_i32 s2, s10, s2
	s_wait_kmcnt 0x0
	v_mul_u64_e32 v[2:3], s[8:9], v[2:3]
	s_bfe_u32 s8, ttmp6, 0x40008
	s_add_co_i32 s8, s8, s2
	s_cmp_eq_u32 s3, 0
	s_cselect_b32 s10, s10, s8
	s_load_b64 s[8:9], s[4:5], s10 offset:0x0 scale_offset
	s_load_b64 s[2:3], s[0:1], 0x28
	s_wait_xcnt 0x0
	s_lshl_b64 s[0:1], s[6:7], 1
	s_wait_kmcnt 0x0
	s_add_nc_u64 s[0:1], s[8:9], s[0:1]
	s_delay_alu instid0(VALU_DEP_1) | instid1(SALU_CYCLE_1)
	v_lshl_add_u64 v[4:5], v[2:3], 1, s[0:1]
	v_mov_b32_e32 v2, 0
	s_delay_alu instid0(VALU_DEP_2)
	v_lshl_add_u64 v[4:5], v[0:1], 1, v[4:5]
	global_load_u8 v0, v2, s[2:3] offset:1
	flat_load_u16 v1, v[4:5]
	s_wait_loadcnt 0x1
	v_readfirstlane_b32 s0, v0
	s_wait_loadcnt_dscnt 0x0
	v_and_b32_e32 v0, 0x7fff, v1
	s_bitcmp1_b32 s0, 0
	s_delay_alu instid0(VALU_DEP_1) | instskip(SKIP_1) | instid1(SALU_CYCLE_1)
	v_cmp_eq_u16_e32 vcc_lo, 0, v0
	s_cselect_b32 s0, -1, 0
	s_xor_b32 s0, s0, -1
	s_delay_alu instid0(SALU_CYCLE_1) | instskip(NEXT) | instid1(SALU_CYCLE_1)
	s_and_b32 s1, s0, vcc_lo
	s_and_saveexec_b32 s0, s1
	s_cbranch_execz .LBB42_3
; %bb.2:
	v_mov_b32_e32 v3, 1
	global_store_b8 v2, v3, s[2:3] offset:1
.LBB42_3:
	s_wait_xcnt 0x0
	s_or_b32 exec_lo, exec_lo, s0
	global_load_u8 v2, v2, s[2:3]
	s_wait_loadcnt 0x0
	v_and_b32_e32 v2, 1, v2
	s_delay_alu instid0(VALU_DEP_1)
	v_cmp_eq_u32_e32 vcc_lo, 1, v2
	s_cbranch_vccnz .LBB42_7
; %bb.4:
	v_and_b32_e32 v1, 0xffff, v1
	s_delay_alu instid0(VALU_DEP_1) | instskip(SKIP_1) | instid1(VALU_DEP_2)
	v_and_b32_e32 v2, 0x7f80, v1
	v_and_b32_e32 v1, 0x7f, v1
	v_cmp_eq_u32_e32 vcc_lo, 0x7f80, v2
	s_delay_alu instid0(VALU_DEP_2) | instskip(SKIP_1) | instid1(SALU_CYCLE_1)
	v_cmp_ne_u32_e64 s0, 0, v1
	s_and_b32 s1, vcc_lo, s0
	s_and_saveexec_b32 s0, s1
	s_cbranch_execz .LBB42_6
; %bb.5:
	v_dual_mov_b32 v1, 0 :: v_dual_mov_b32 v2, 1
	global_store_b8 v1, v2, s[2:3]
.LBB42_6:
	s_wait_xcnt 0x0
	s_or_b32 exec_lo, exec_lo, s0
.LBB42_7:
	v_mov_b32_e32 v1, 0
	v_cmp_eq_u16_e32 vcc_lo, 0x7f80, v0
	global_load_u8 v2, v1, s[2:3] offset:2
	s_wait_loadcnt 0x0
	v_readfirstlane_b32 s0, v2
	s_bitcmp1_b32 s0, 0
	s_cselect_b32 s0, -1, 0
	s_delay_alu instid0(SALU_CYCLE_1) | instskip(NEXT) | instid1(SALU_CYCLE_1)
	s_xor_b32 s0, s0, -1
	s_and_b32 s1, s0, vcc_lo
	s_wait_xcnt 0x0
	s_and_saveexec_b32 s0, s1
	s_cbranch_execz .LBB42_9
; %bb.8:
	v_mov_b32_e32 v2, 1
	global_store_b8 v1, v2, s[2:3] offset:2
.LBB42_9:
	s_wait_xcnt 0x0
	s_or_b32 exec_lo, exec_lo, s0
	global_load_u8 v1, v1, s[2:3] offset:3
	v_add_nc_u16 v0, 0xff80, v0
	s_delay_alu instid0(VALU_DEP_1) | instskip(SKIP_4) | instid1(SALU_CYCLE_1)
	v_cmp_lt_u16_e32 vcc_lo, 0xff80, v0
	s_wait_loadcnt 0x0
	v_readfirstlane_b32 s0, v1
	s_bitcmp1_b32 s0, 0
	s_cselect_b32 s0, -1, 0
	s_xor_b32 s0, s0, -1
	s_delay_alu instid0(SALU_CYCLE_1)
	s_and_b32 s0, s0, vcc_lo
	s_wait_xcnt 0x0
	s_and_b32 exec_lo, exec_lo, s0
	s_cbranch_execz .LBB42_11
; %bb.10:
	v_dual_mov_b32 v0, 0 :: v_dual_mov_b32 v1, 1
	global_store_b8 v0, v1, s[2:3] offset:3
.LBB42_11:
	s_endpgm
	.section	.rodata,"a",@progbits
	.p2align	6, 0x0
	.amdhsa_kernel _ZL39rocblas_check_numerics_ge_matrix_kernelILi16ELi16EPKP16rocblas_bfloat16EviiT1_lllP24rocblas_check_numerics_s
		.amdhsa_group_segment_fixed_size 0
		.amdhsa_private_segment_fixed_size 0
		.amdhsa_kernarg_size 304
		.amdhsa_user_sgpr_count 2
		.amdhsa_user_sgpr_dispatch_ptr 0
		.amdhsa_user_sgpr_queue_ptr 0
		.amdhsa_user_sgpr_kernarg_segment_ptr 1
		.amdhsa_user_sgpr_dispatch_id 0
		.amdhsa_user_sgpr_kernarg_preload_length 0
		.amdhsa_user_sgpr_kernarg_preload_offset 0
		.amdhsa_user_sgpr_private_segment_size 0
		.amdhsa_wavefront_size32 1
		.amdhsa_uses_dynamic_stack 0
		.amdhsa_enable_private_segment 0
		.amdhsa_system_sgpr_workgroup_id_x 1
		.amdhsa_system_sgpr_workgroup_id_y 1
		.amdhsa_system_sgpr_workgroup_id_z 1
		.amdhsa_system_sgpr_workgroup_info 0
		.amdhsa_system_vgpr_workitem_id 1
		.amdhsa_next_free_vgpr 6
		.amdhsa_next_free_sgpr 11
		.amdhsa_named_barrier_count 0
		.amdhsa_reserve_vcc 1
		.amdhsa_float_round_mode_32 0
		.amdhsa_float_round_mode_16_64 0
		.amdhsa_float_denorm_mode_32 3
		.amdhsa_float_denorm_mode_16_64 3
		.amdhsa_fp16_overflow 0
		.amdhsa_memory_ordered 1
		.amdhsa_forward_progress 1
		.amdhsa_inst_pref_size 6
		.amdhsa_round_robin_scheduling 0
		.amdhsa_exception_fp_ieee_invalid_op 0
		.amdhsa_exception_fp_denorm_src 0
		.amdhsa_exception_fp_ieee_div_zero 0
		.amdhsa_exception_fp_ieee_overflow 0
		.amdhsa_exception_fp_ieee_underflow 0
		.amdhsa_exception_fp_ieee_inexact 0
		.amdhsa_exception_int_div_zero 0
	.end_amdhsa_kernel
	.section	.text._ZL39rocblas_check_numerics_ge_matrix_kernelILi16ELi16EPKP16rocblas_bfloat16EviiT1_lllP24rocblas_check_numerics_s,"axG",@progbits,_ZL39rocblas_check_numerics_ge_matrix_kernelILi16ELi16EPKP16rocblas_bfloat16EviiT1_lllP24rocblas_check_numerics_s,comdat
.Lfunc_end42:
	.size	_ZL39rocblas_check_numerics_ge_matrix_kernelILi16ELi16EPKP16rocblas_bfloat16EviiT1_lllP24rocblas_check_numerics_s, .Lfunc_end42-_ZL39rocblas_check_numerics_ge_matrix_kernelILi16ELi16EPKP16rocblas_bfloat16EviiT1_lllP24rocblas_check_numerics_s
                                        ; -- End function
	.set _ZL39rocblas_check_numerics_ge_matrix_kernelILi16ELi16EPKP16rocblas_bfloat16EviiT1_lllP24rocblas_check_numerics_s.num_vgpr, 6
	.set _ZL39rocblas_check_numerics_ge_matrix_kernelILi16ELi16EPKP16rocblas_bfloat16EviiT1_lllP24rocblas_check_numerics_s.num_agpr, 0
	.set _ZL39rocblas_check_numerics_ge_matrix_kernelILi16ELi16EPKP16rocblas_bfloat16EviiT1_lllP24rocblas_check_numerics_s.numbered_sgpr, 11
	.set _ZL39rocblas_check_numerics_ge_matrix_kernelILi16ELi16EPKP16rocblas_bfloat16EviiT1_lllP24rocblas_check_numerics_s.num_named_barrier, 0
	.set _ZL39rocblas_check_numerics_ge_matrix_kernelILi16ELi16EPKP16rocblas_bfloat16EviiT1_lllP24rocblas_check_numerics_s.private_seg_size, 0
	.set _ZL39rocblas_check_numerics_ge_matrix_kernelILi16ELi16EPKP16rocblas_bfloat16EviiT1_lllP24rocblas_check_numerics_s.uses_vcc, 1
	.set _ZL39rocblas_check_numerics_ge_matrix_kernelILi16ELi16EPKP16rocblas_bfloat16EviiT1_lllP24rocblas_check_numerics_s.uses_flat_scratch, 0
	.set _ZL39rocblas_check_numerics_ge_matrix_kernelILi16ELi16EPKP16rocblas_bfloat16EviiT1_lllP24rocblas_check_numerics_s.has_dyn_sized_stack, 0
	.set _ZL39rocblas_check_numerics_ge_matrix_kernelILi16ELi16EPKP16rocblas_bfloat16EviiT1_lllP24rocblas_check_numerics_s.has_recursion, 0
	.set _ZL39rocblas_check_numerics_ge_matrix_kernelILi16ELi16EPKP16rocblas_bfloat16EviiT1_lllP24rocblas_check_numerics_s.has_indirect_call, 0
	.section	.AMDGPU.csdata,"",@progbits
; Kernel info:
; codeLenInByte = 732
; TotalNumSgprs: 13
; NumVgprs: 6
; ScratchSize: 0
; MemoryBound: 0
; FloatMode: 240
; IeeeMode: 1
; LDSByteSize: 0 bytes/workgroup (compile time only)
; SGPRBlocks: 0
; VGPRBlocks: 0
; NumSGPRsForWavesPerEU: 13
; NumVGPRsForWavesPerEU: 6
; NamedBarCnt: 0
; Occupancy: 16
; WaveLimiterHint : 1
; COMPUTE_PGM_RSRC2:SCRATCH_EN: 0
; COMPUTE_PGM_RSRC2:USER_SGPR: 2
; COMPUTE_PGM_RSRC2:TRAP_HANDLER: 0
; COMPUTE_PGM_RSRC2:TGID_X_EN: 1
; COMPUTE_PGM_RSRC2:TGID_Y_EN: 1
; COMPUTE_PGM_RSRC2:TGID_Z_EN: 1
; COMPUTE_PGM_RSRC2:TIDIG_COMP_CNT: 1
	.section	.text._ZL49rocblas_check_numerics_sym_herm_tri_matrix_kernelILi16ELi16EPKP16rocblas_bfloat16EvbiT1_lllP24rocblas_check_numerics_s,"axG",@progbits,_ZL49rocblas_check_numerics_sym_herm_tri_matrix_kernelILi16ELi16EPKP16rocblas_bfloat16EvbiT1_lllP24rocblas_check_numerics_s,comdat
	.globl	_ZL49rocblas_check_numerics_sym_herm_tri_matrix_kernelILi16ELi16EPKP16rocblas_bfloat16EvbiT1_lllP24rocblas_check_numerics_s ; -- Begin function _ZL49rocblas_check_numerics_sym_herm_tri_matrix_kernelILi16ELi16EPKP16rocblas_bfloat16EvbiT1_lllP24rocblas_check_numerics_s
	.p2align	8
	.type	_ZL49rocblas_check_numerics_sym_herm_tri_matrix_kernelILi16ELi16EPKP16rocblas_bfloat16EvbiT1_lllP24rocblas_check_numerics_s,@function
_ZL49rocblas_check_numerics_sym_herm_tri_matrix_kernelILi16ELi16EPKP16rocblas_bfloat16EvbiT1_lllP24rocblas_check_numerics_s: ; @_ZL49rocblas_check_numerics_sym_herm_tri_matrix_kernelILi16ELi16EPKP16rocblas_bfloat16EvbiT1_lllP24rocblas_check_numerics_s
; %bb.0:
	s_clause 0x1
	s_load_b64 s[2:3], s[0:1], 0x0
	s_load_b32 s5, s[0:1], 0x3c
	s_bfe_u32 s7, ttmp6, 0x4000c
	s_bfe_u32 s9, ttmp6, 0x40010
	s_and_b32 s8, ttmp7, 0xffff
	s_add_co_i32 s7, s7, 1
	s_add_co_i32 s9, s9, 1
	s_and_b32 s6, ttmp6, 15
	s_bfe_u32 s10, ttmp6, 0x40004
	s_mul_i32 s7, ttmp9, s7
	s_mul_i32 s9, s8, s9
	s_getreg_b32 s4, hwreg(HW_REG_IB_STS2, 6, 4)
	v_and_b32_e32 v1, 0x3ff, v0
	v_bfe_u32 v2, v0, 10, 10
	s_add_co_i32 s6, s6, s7
	s_add_co_i32 s10, s10, s9
	s_wait_kmcnt 0x0
	s_and_b32 s2, s2, 1
	s_lshr_b32 s7, s5, 16
	s_and_b32 s5, s5, 0xffff
	s_cmp_eq_u32 s4, 0
	s_cselect_b32 s6, ttmp9, s6
	s_cselect_b32 s8, s8, s10
	v_mad_u32 v0, s6, s5, v1
	v_mad_u32 v2, s8, s7, v2
	s_mov_b32 s5, 0
	s_cmp_eq_u32 s2, 0
	s_mov_b32 s2, -1
	s_cbranch_scc1 .LBB43_4
; %bb.1:
	s_and_not1_b32 vcc_lo, exec_lo, s2
	s_cbranch_vccz .LBB43_5
.LBB43_2:
	s_and_saveexec_b32 s2, s5
	s_cbranch_execnz .LBB43_6
.LBB43_3:
	s_endpgm
.LBB43_4:
	s_delay_alu instid0(VALU_DEP_2) | instskip(NEXT) | instid1(VALU_DEP_2)
	v_cmp_gt_i32_e32 vcc_lo, s3, v0
	v_cmp_le_i32_e64 s2, v2, v0
	s_and_b32 s5, vcc_lo, s2
	s_delay_alu instid0(SALU_CYCLE_1)
	s_and_b32 s5, s5, exec_lo
	s_cbranch_execnz .LBB43_2
.LBB43_5:
	s_delay_alu instid0(VALU_DEP_1) | instskip(NEXT) | instid1(VALU_DEP_3)
	v_cmp_gt_i32_e32 vcc_lo, s3, v2
	v_cmp_le_i32_e64 s2, v0, v2
	s_and_not1_b32 s3, s5, exec_lo
	s_and_b32 s2, vcc_lo, s2
	s_delay_alu instid0(SALU_CYCLE_1) | instskip(NEXT) | instid1(SALU_CYCLE_1)
	s_and_b32 s2, s2, exec_lo
	s_or_b32 s5, s3, s2
	s_delay_alu instid0(SALU_CYCLE_1)
	s_and_saveexec_b32 s2, s5
	s_cbranch_execz .LBB43_3
.LBB43_6:
	s_clause 0x1
	s_load_b64 s[2:3], s[0:1], 0x18
	s_load_b128 s[8:11], s[0:1], 0x8
	v_dual_ashrrev_i32 v3, 31, v2 :: v_dual_ashrrev_i32 v1, 31, v0
	s_bfe_u32 s5, ttmp6, 0x40014
	s_lshr_b32 s6, ttmp7, 16
	s_add_co_i32 s5, s5, 1
	s_wait_kmcnt 0x0
	v_mul_u64_e32 v[2:3], s[2:3], v[2:3]
	s_mul_i32 s2, s6, s5
	s_bfe_u32 s3, ttmp6, 0x40008
	s_delay_alu instid0(SALU_CYCLE_1)
	s_add_co_i32 s3, s3, s2
	s_cmp_eq_u32 s4, 0
	s_cselect_b32 s6, s6, s3
	s_load_b64 s[4:5], s[8:9], s6 offset:0x0 scale_offset
	s_load_b64 s[2:3], s[0:1], 0x28
	s_wait_xcnt 0x0
	s_lshl_b64 s[0:1], s[10:11], 1
	s_wait_kmcnt 0x0
	s_add_nc_u64 s[0:1], s[4:5], s[0:1]
	s_delay_alu instid0(VALU_DEP_1) | instid1(SALU_CYCLE_1)
	v_lshl_add_u64 v[4:5], v[2:3], 1, s[0:1]
	v_mov_b32_e32 v2, 0
	s_delay_alu instid0(VALU_DEP_2)
	v_lshl_add_u64 v[4:5], v[0:1], 1, v[4:5]
	global_load_u8 v0, v2, s[2:3] offset:1
	flat_load_u16 v1, v[4:5]
	s_wait_loadcnt 0x1
	v_readfirstlane_b32 s0, v0
	s_wait_loadcnt_dscnt 0x0
	v_and_b32_e32 v0, 0x7fff, v1
	s_bitcmp1_b32 s0, 0
	s_delay_alu instid0(VALU_DEP_1) | instskip(SKIP_1) | instid1(SALU_CYCLE_1)
	v_cmp_eq_u16_e32 vcc_lo, 0, v0
	s_cselect_b32 s0, -1, 0
	s_xor_b32 s0, s0, -1
	s_delay_alu instid0(SALU_CYCLE_1) | instskip(NEXT) | instid1(SALU_CYCLE_1)
	s_and_b32 s1, s0, vcc_lo
	s_and_saveexec_b32 s0, s1
	s_cbranch_execz .LBB43_8
; %bb.7:
	v_mov_b32_e32 v3, 1
	global_store_b8 v2, v3, s[2:3] offset:1
.LBB43_8:
	s_wait_xcnt 0x0
	s_or_b32 exec_lo, exec_lo, s0
	global_load_u8 v2, v2, s[2:3]
	s_wait_loadcnt 0x0
	v_and_b32_e32 v2, 1, v2
	s_delay_alu instid0(VALU_DEP_1)
	v_cmp_eq_u32_e32 vcc_lo, 1, v2
	s_cbranch_vccnz .LBB43_12
; %bb.9:
	v_and_b32_e32 v1, 0xffff, v1
	s_delay_alu instid0(VALU_DEP_1) | instskip(SKIP_1) | instid1(VALU_DEP_2)
	v_and_b32_e32 v2, 0x7f80, v1
	v_and_b32_e32 v1, 0x7f, v1
	v_cmp_eq_u32_e32 vcc_lo, 0x7f80, v2
	s_delay_alu instid0(VALU_DEP_2) | instskip(SKIP_1) | instid1(SALU_CYCLE_1)
	v_cmp_ne_u32_e64 s0, 0, v1
	s_and_b32 s1, vcc_lo, s0
	s_and_saveexec_b32 s0, s1
	s_cbranch_execz .LBB43_11
; %bb.10:
	v_dual_mov_b32 v1, 0 :: v_dual_mov_b32 v2, 1
	global_store_b8 v1, v2, s[2:3]
.LBB43_11:
	s_wait_xcnt 0x0
	s_or_b32 exec_lo, exec_lo, s0
.LBB43_12:
	v_mov_b32_e32 v1, 0
	v_cmp_eq_u16_e32 vcc_lo, 0x7f80, v0
	global_load_u8 v2, v1, s[2:3] offset:2
	s_wait_loadcnt 0x0
	v_readfirstlane_b32 s0, v2
	s_bitcmp1_b32 s0, 0
	s_cselect_b32 s0, -1, 0
	s_delay_alu instid0(SALU_CYCLE_1) | instskip(NEXT) | instid1(SALU_CYCLE_1)
	s_xor_b32 s0, s0, -1
	s_and_b32 s1, s0, vcc_lo
	s_wait_xcnt 0x0
	s_and_saveexec_b32 s0, s1
	s_cbranch_execz .LBB43_14
; %bb.13:
	v_mov_b32_e32 v2, 1
	global_store_b8 v1, v2, s[2:3] offset:2
.LBB43_14:
	s_wait_xcnt 0x0
	s_or_b32 exec_lo, exec_lo, s0
	global_load_u8 v1, v1, s[2:3] offset:3
	v_add_nc_u16 v0, 0xff80, v0
	s_delay_alu instid0(VALU_DEP_1) | instskip(SKIP_4) | instid1(SALU_CYCLE_1)
	v_cmp_lt_u16_e32 vcc_lo, 0xff80, v0
	s_wait_loadcnt 0x0
	v_readfirstlane_b32 s0, v1
	s_bitcmp1_b32 s0, 0
	s_cselect_b32 s0, -1, 0
	s_xor_b32 s0, s0, -1
	s_delay_alu instid0(SALU_CYCLE_1)
	s_and_b32 s0, s0, vcc_lo
	s_wait_xcnt 0x0
	s_and_b32 exec_lo, exec_lo, s0
	s_cbranch_execz .LBB43_3
; %bb.15:
	v_dual_mov_b32 v0, 0 :: v_dual_mov_b32 v1, 1
	global_store_b8 v0, v1, s[2:3] offset:3
	s_endpgm
	.section	.rodata,"a",@progbits
	.p2align	6, 0x0
	.amdhsa_kernel _ZL49rocblas_check_numerics_sym_herm_tri_matrix_kernelILi16ELi16EPKP16rocblas_bfloat16EvbiT1_lllP24rocblas_check_numerics_s
		.amdhsa_group_segment_fixed_size 0
		.amdhsa_private_segment_fixed_size 0
		.amdhsa_kernarg_size 304
		.amdhsa_user_sgpr_count 2
		.amdhsa_user_sgpr_dispatch_ptr 0
		.amdhsa_user_sgpr_queue_ptr 0
		.amdhsa_user_sgpr_kernarg_segment_ptr 1
		.amdhsa_user_sgpr_dispatch_id 0
		.amdhsa_user_sgpr_kernarg_preload_length 0
		.amdhsa_user_sgpr_kernarg_preload_offset 0
		.amdhsa_user_sgpr_private_segment_size 0
		.amdhsa_wavefront_size32 1
		.amdhsa_uses_dynamic_stack 0
		.amdhsa_enable_private_segment 0
		.amdhsa_system_sgpr_workgroup_id_x 1
		.amdhsa_system_sgpr_workgroup_id_y 1
		.amdhsa_system_sgpr_workgroup_id_z 1
		.amdhsa_system_sgpr_workgroup_info 0
		.amdhsa_system_vgpr_workitem_id 1
		.amdhsa_next_free_vgpr 6
		.amdhsa_next_free_sgpr 12
		.amdhsa_named_barrier_count 0
		.amdhsa_reserve_vcc 1
		.amdhsa_float_round_mode_32 0
		.amdhsa_float_round_mode_16_64 0
		.amdhsa_float_denorm_mode_32 3
		.amdhsa_float_denorm_mode_16_64 3
		.amdhsa_fp16_overflow 0
		.amdhsa_memory_ordered 1
		.amdhsa_forward_progress 1
		.amdhsa_inst_pref_size 7
		.amdhsa_round_robin_scheduling 0
		.amdhsa_exception_fp_ieee_invalid_op 0
		.amdhsa_exception_fp_denorm_src 0
		.amdhsa_exception_fp_ieee_div_zero 0
		.amdhsa_exception_fp_ieee_overflow 0
		.amdhsa_exception_fp_ieee_underflow 0
		.amdhsa_exception_fp_ieee_inexact 0
		.amdhsa_exception_int_div_zero 0
	.end_amdhsa_kernel
	.section	.text._ZL49rocblas_check_numerics_sym_herm_tri_matrix_kernelILi16ELi16EPKP16rocblas_bfloat16EvbiT1_lllP24rocblas_check_numerics_s,"axG",@progbits,_ZL49rocblas_check_numerics_sym_herm_tri_matrix_kernelILi16ELi16EPKP16rocblas_bfloat16EvbiT1_lllP24rocblas_check_numerics_s,comdat
.Lfunc_end43:
	.size	_ZL49rocblas_check_numerics_sym_herm_tri_matrix_kernelILi16ELi16EPKP16rocblas_bfloat16EvbiT1_lllP24rocblas_check_numerics_s, .Lfunc_end43-_ZL49rocblas_check_numerics_sym_herm_tri_matrix_kernelILi16ELi16EPKP16rocblas_bfloat16EvbiT1_lllP24rocblas_check_numerics_s
                                        ; -- End function
	.set _ZL49rocblas_check_numerics_sym_herm_tri_matrix_kernelILi16ELi16EPKP16rocblas_bfloat16EvbiT1_lllP24rocblas_check_numerics_s.num_vgpr, 6
	.set _ZL49rocblas_check_numerics_sym_herm_tri_matrix_kernelILi16ELi16EPKP16rocblas_bfloat16EvbiT1_lllP24rocblas_check_numerics_s.num_agpr, 0
	.set _ZL49rocblas_check_numerics_sym_herm_tri_matrix_kernelILi16ELi16EPKP16rocblas_bfloat16EvbiT1_lllP24rocblas_check_numerics_s.numbered_sgpr, 12
	.set _ZL49rocblas_check_numerics_sym_herm_tri_matrix_kernelILi16ELi16EPKP16rocblas_bfloat16EvbiT1_lllP24rocblas_check_numerics_s.num_named_barrier, 0
	.set _ZL49rocblas_check_numerics_sym_herm_tri_matrix_kernelILi16ELi16EPKP16rocblas_bfloat16EvbiT1_lllP24rocblas_check_numerics_s.private_seg_size, 0
	.set _ZL49rocblas_check_numerics_sym_herm_tri_matrix_kernelILi16ELi16EPKP16rocblas_bfloat16EvbiT1_lllP24rocblas_check_numerics_s.uses_vcc, 1
	.set _ZL49rocblas_check_numerics_sym_herm_tri_matrix_kernelILi16ELi16EPKP16rocblas_bfloat16EvbiT1_lllP24rocblas_check_numerics_s.uses_flat_scratch, 0
	.set _ZL49rocblas_check_numerics_sym_herm_tri_matrix_kernelILi16ELi16EPKP16rocblas_bfloat16EvbiT1_lllP24rocblas_check_numerics_s.has_dyn_sized_stack, 0
	.set _ZL49rocblas_check_numerics_sym_herm_tri_matrix_kernelILi16ELi16EPKP16rocblas_bfloat16EvbiT1_lllP24rocblas_check_numerics_s.has_recursion, 0
	.set _ZL49rocblas_check_numerics_sym_herm_tri_matrix_kernelILi16ELi16EPKP16rocblas_bfloat16EvbiT1_lllP24rocblas_check_numerics_s.has_indirect_call, 0
	.section	.AMDGPU.csdata,"",@progbits
; Kernel info:
; codeLenInByte = 820
; TotalNumSgprs: 14
; NumVgprs: 6
; ScratchSize: 0
; MemoryBound: 0
; FloatMode: 240
; IeeeMode: 1
; LDSByteSize: 0 bytes/workgroup (compile time only)
; SGPRBlocks: 0
; VGPRBlocks: 0
; NumSGPRsForWavesPerEU: 14
; NumVGPRsForWavesPerEU: 6
; NamedBarCnt: 0
; Occupancy: 16
; WaveLimiterHint : 1
; COMPUTE_PGM_RSRC2:SCRATCH_EN: 0
; COMPUTE_PGM_RSRC2:USER_SGPR: 2
; COMPUTE_PGM_RSRC2:TRAP_HANDLER: 0
; COMPUTE_PGM_RSRC2:TGID_X_EN: 1
; COMPUTE_PGM_RSRC2:TGID_Y_EN: 1
; COMPUTE_PGM_RSRC2:TGID_Z_EN: 1
; COMPUTE_PGM_RSRC2:TIDIG_COMP_CNT: 1
	.section	.text._ZL39rocblas_check_numerics_ge_matrix_kernelILi16ELi16EPK16rocblas_bfloat16EviiT1_lllP24rocblas_check_numerics_s,"axG",@progbits,_ZL39rocblas_check_numerics_ge_matrix_kernelILi16ELi16EPK16rocblas_bfloat16EviiT1_lllP24rocblas_check_numerics_s,comdat
	.globl	_ZL39rocblas_check_numerics_ge_matrix_kernelILi16ELi16EPK16rocblas_bfloat16EviiT1_lllP24rocblas_check_numerics_s ; -- Begin function _ZL39rocblas_check_numerics_ge_matrix_kernelILi16ELi16EPK16rocblas_bfloat16EviiT1_lllP24rocblas_check_numerics_s
	.p2align	8
	.type	_ZL39rocblas_check_numerics_ge_matrix_kernelILi16ELi16EPK16rocblas_bfloat16EviiT1_lllP24rocblas_check_numerics_s,@function
_ZL39rocblas_check_numerics_ge_matrix_kernelILi16ELi16EPK16rocblas_bfloat16EviiT1_lllP24rocblas_check_numerics_s: ; @_ZL39rocblas_check_numerics_ge_matrix_kernelILi16ELi16EPK16rocblas_bfloat16EviiT1_lllP24rocblas_check_numerics_s
; %bb.0:
	s_clause 0x1
	s_load_b32 s2, s[0:1], 0x3c
	s_load_b64 s[4:5], s[0:1], 0x0
	s_bfe_u32 s7, ttmp6, 0x40010
	s_bfe_u32 s10, ttmp6, 0x4000c
	s_and_b32 s6, ttmp7, 0xffff
	s_add_co_i32 s7, s7, 1
	s_add_co_i32 s10, s10, 1
	s_bfe_u32 s8, ttmp6, 0x40004
	s_and_b32 s9, ttmp6, 15
	s_mul_i32 s7, s6, s7
	s_mul_i32 s10, ttmp9, s10
	s_getreg_b32 s3, hwreg(HW_REG_IB_STS2, 6, 4)
	v_and_b32_e32 v1, 0x3ff, v0
	v_bfe_u32 v2, v0, 10, 10
	s_add_co_i32 s8, s8, s7
	s_add_co_i32 s9, s9, s10
	s_mov_b32 s13, 0
	s_wait_kmcnt 0x0
	s_lshr_b32 s7, s2, 16
	s_and_b32 s2, s2, 0xffff
	s_cmp_eq_u32 s3, 0
	s_cselect_b32 s9, ttmp9, s9
	s_cselect_b32 s6, s6, s8
	v_mad_u32 v0, s9, s2, v1
	v_mad_u32 v2, s6, s7, v2
	s_delay_alu instid0(VALU_DEP_2) | instskip(NEXT) | instid1(VALU_DEP_2)
	v_cmp_gt_i32_e32 vcc_lo, s4, v0
	v_cmp_gt_i32_e64 s2, s5, v2
	s_and_b32 s2, vcc_lo, s2
	s_delay_alu instid0(SALU_CYCLE_1)
	s_and_saveexec_b32 s4, s2
	s_cbranch_execz .LBB44_11
; %bb.1:
	s_load_b256 s[4:11], s[0:1], 0x8
	v_dual_ashrrev_i32 v3, 31, v2 :: v_dual_ashrrev_i32 v1, 31, v0
	s_bfe_u32 s2, ttmp6, 0x40014
	s_delay_alu instid0(SALU_CYCLE_1) | instskip(SKIP_1) | instid1(VALU_DEP_1)
	s_add_co_i32 s2, s2, 1
	s_wait_kmcnt 0x0
	v_mul_u64_e32 v[2:3], s[8:9], v[2:3]
	s_lshr_b32 s8, ttmp7, 16
	s_bfe_u32 s9, ttmp6, 0x40008
	s_mul_i32 s2, s8, s2
	s_delay_alu instid0(SALU_CYCLE_1)
	s_add_co_i32 s9, s9, s2
	s_cmp_eq_u32 s3, 0
	s_load_b64 s[2:3], s[0:1], 0x28
	s_cselect_b32 s12, s8, s9
	s_wait_xcnt 0x0
	s_mul_u64 s[0:1], s[10:11], s[12:13]
	s_delay_alu instid0(SALU_CYCLE_1) | instskip(NEXT) | instid1(SALU_CYCLE_1)
	s_lshl_b64 s[0:1], s[0:1], 1
	s_add_nc_u64 s[0:1], s[4:5], s[0:1]
	s_lshl_b64 s[4:5], s[6:7], 1
	s_delay_alu instid0(SALU_CYCLE_1)
	s_add_nc_u64 s[0:1], s[0:1], s[4:5]
	s_delay_alu instid0(VALU_DEP_1) | instid1(SALU_CYCLE_1)
	v_lshl_add_u64 v[4:5], v[2:3], 1, s[0:1]
	v_mov_b32_e32 v2, 0
	s_delay_alu instid0(VALU_DEP_2)
	v_lshl_add_u64 v[4:5], v[0:1], 1, v[4:5]
	s_wait_kmcnt 0x0
	global_load_u8 v0, v2, s[2:3] offset:1
	global_load_u16 v1, v[4:5], off
	s_wait_loadcnt 0x1
	v_readfirstlane_b32 s0, v0
	s_wait_loadcnt 0x0
	v_and_b32_e32 v0, 0x7fff, v1
	s_bitcmp1_b32 s0, 0
	s_delay_alu instid0(VALU_DEP_1) | instskip(SKIP_1) | instid1(SALU_CYCLE_1)
	v_cmp_eq_u16_e32 vcc_lo, 0, v0
	s_cselect_b32 s0, -1, 0
	s_xor_b32 s0, s0, -1
	s_delay_alu instid0(SALU_CYCLE_1) | instskip(NEXT) | instid1(SALU_CYCLE_1)
	s_and_b32 s1, s0, vcc_lo
	s_and_saveexec_b32 s0, s1
	s_cbranch_execz .LBB44_3
; %bb.2:
	v_mov_b32_e32 v3, 1
	global_store_b8 v2, v3, s[2:3] offset:1
.LBB44_3:
	s_wait_xcnt 0x0
	s_or_b32 exec_lo, exec_lo, s0
	global_load_u8 v2, v2, s[2:3]
	s_wait_loadcnt 0x0
	v_and_b32_e32 v2, 1, v2
	s_delay_alu instid0(VALU_DEP_1)
	v_cmp_eq_u32_e32 vcc_lo, 1, v2
	s_cbranch_vccnz .LBB44_7
; %bb.4:
	v_and_b32_e32 v1, 0xffff, v1
	s_delay_alu instid0(VALU_DEP_1) | instskip(SKIP_1) | instid1(VALU_DEP_2)
	v_and_b32_e32 v2, 0x7f80, v1
	v_and_b32_e32 v1, 0x7f, v1
	v_cmp_eq_u32_e32 vcc_lo, 0x7f80, v2
	s_delay_alu instid0(VALU_DEP_2) | instskip(SKIP_1) | instid1(SALU_CYCLE_1)
	v_cmp_ne_u32_e64 s0, 0, v1
	s_and_b32 s1, vcc_lo, s0
	s_and_saveexec_b32 s0, s1
	s_cbranch_execz .LBB44_6
; %bb.5:
	v_dual_mov_b32 v1, 0 :: v_dual_mov_b32 v2, 1
	global_store_b8 v1, v2, s[2:3]
.LBB44_6:
	s_wait_xcnt 0x0
	s_or_b32 exec_lo, exec_lo, s0
.LBB44_7:
	v_mov_b32_e32 v1, 0
	v_cmp_eq_u16_e32 vcc_lo, 0x7f80, v0
	global_load_u8 v2, v1, s[2:3] offset:2
	s_wait_loadcnt 0x0
	v_readfirstlane_b32 s0, v2
	s_bitcmp1_b32 s0, 0
	s_cselect_b32 s0, -1, 0
	s_delay_alu instid0(SALU_CYCLE_1) | instskip(NEXT) | instid1(SALU_CYCLE_1)
	s_xor_b32 s0, s0, -1
	s_and_b32 s1, s0, vcc_lo
	s_wait_xcnt 0x0
	s_and_saveexec_b32 s0, s1
	s_cbranch_execz .LBB44_9
; %bb.8:
	v_mov_b32_e32 v2, 1
	global_store_b8 v1, v2, s[2:3] offset:2
.LBB44_9:
	s_wait_xcnt 0x0
	s_or_b32 exec_lo, exec_lo, s0
	global_load_u8 v1, v1, s[2:3] offset:3
	v_add_nc_u16 v0, 0xff80, v0
	s_delay_alu instid0(VALU_DEP_1) | instskip(SKIP_4) | instid1(SALU_CYCLE_1)
	v_cmp_lt_u16_e32 vcc_lo, 0xff80, v0
	s_wait_loadcnt 0x0
	v_readfirstlane_b32 s0, v1
	s_bitcmp1_b32 s0, 0
	s_cselect_b32 s0, -1, 0
	s_xor_b32 s0, s0, -1
	s_delay_alu instid0(SALU_CYCLE_1)
	s_and_b32 s0, s0, vcc_lo
	s_wait_xcnt 0x0
	s_and_b32 exec_lo, exec_lo, s0
	s_cbranch_execz .LBB44_11
; %bb.10:
	v_dual_mov_b32 v0, 0 :: v_dual_mov_b32 v1, 1
	global_store_b8 v0, v1, s[2:3] offset:3
.LBB44_11:
	s_endpgm
	.section	.rodata,"a",@progbits
	.p2align	6, 0x0
	.amdhsa_kernel _ZL39rocblas_check_numerics_ge_matrix_kernelILi16ELi16EPK16rocblas_bfloat16EviiT1_lllP24rocblas_check_numerics_s
		.amdhsa_group_segment_fixed_size 0
		.amdhsa_private_segment_fixed_size 0
		.amdhsa_kernarg_size 304
		.amdhsa_user_sgpr_count 2
		.amdhsa_user_sgpr_dispatch_ptr 0
		.amdhsa_user_sgpr_queue_ptr 0
		.amdhsa_user_sgpr_kernarg_segment_ptr 1
		.amdhsa_user_sgpr_dispatch_id 0
		.amdhsa_user_sgpr_kernarg_preload_length 0
		.amdhsa_user_sgpr_kernarg_preload_offset 0
		.amdhsa_user_sgpr_private_segment_size 0
		.amdhsa_wavefront_size32 1
		.amdhsa_uses_dynamic_stack 0
		.amdhsa_enable_private_segment 0
		.amdhsa_system_sgpr_workgroup_id_x 1
		.amdhsa_system_sgpr_workgroup_id_y 1
		.amdhsa_system_sgpr_workgroup_id_z 1
		.amdhsa_system_sgpr_workgroup_info 0
		.amdhsa_system_vgpr_workitem_id 1
		.amdhsa_next_free_vgpr 6
		.amdhsa_next_free_sgpr 14
		.amdhsa_named_barrier_count 0
		.amdhsa_reserve_vcc 1
		.amdhsa_float_round_mode_32 0
		.amdhsa_float_round_mode_16_64 0
		.amdhsa_float_denorm_mode_32 3
		.amdhsa_float_denorm_mode_16_64 3
		.amdhsa_fp16_overflow 0
		.amdhsa_memory_ordered 1
		.amdhsa_forward_progress 1
		.amdhsa_inst_pref_size 6
		.amdhsa_round_robin_scheduling 0
		.amdhsa_exception_fp_ieee_invalid_op 0
		.amdhsa_exception_fp_denorm_src 0
		.amdhsa_exception_fp_ieee_div_zero 0
		.amdhsa_exception_fp_ieee_overflow 0
		.amdhsa_exception_fp_ieee_underflow 0
		.amdhsa_exception_fp_ieee_inexact 0
		.amdhsa_exception_int_div_zero 0
	.end_amdhsa_kernel
	.section	.text._ZL39rocblas_check_numerics_ge_matrix_kernelILi16ELi16EPK16rocblas_bfloat16EviiT1_lllP24rocblas_check_numerics_s,"axG",@progbits,_ZL39rocblas_check_numerics_ge_matrix_kernelILi16ELi16EPK16rocblas_bfloat16EviiT1_lllP24rocblas_check_numerics_s,comdat
.Lfunc_end44:
	.size	_ZL39rocblas_check_numerics_ge_matrix_kernelILi16ELi16EPK16rocblas_bfloat16EviiT1_lllP24rocblas_check_numerics_s, .Lfunc_end44-_ZL39rocblas_check_numerics_ge_matrix_kernelILi16ELi16EPK16rocblas_bfloat16EviiT1_lllP24rocblas_check_numerics_s
                                        ; -- End function
	.set _ZL39rocblas_check_numerics_ge_matrix_kernelILi16ELi16EPK16rocblas_bfloat16EviiT1_lllP24rocblas_check_numerics_s.num_vgpr, 6
	.set _ZL39rocblas_check_numerics_ge_matrix_kernelILi16ELi16EPK16rocblas_bfloat16EviiT1_lllP24rocblas_check_numerics_s.num_agpr, 0
	.set _ZL39rocblas_check_numerics_ge_matrix_kernelILi16ELi16EPK16rocblas_bfloat16EviiT1_lllP24rocblas_check_numerics_s.numbered_sgpr, 14
	.set _ZL39rocblas_check_numerics_ge_matrix_kernelILi16ELi16EPK16rocblas_bfloat16EviiT1_lllP24rocblas_check_numerics_s.num_named_barrier, 0
	.set _ZL39rocblas_check_numerics_ge_matrix_kernelILi16ELi16EPK16rocblas_bfloat16EviiT1_lllP24rocblas_check_numerics_s.private_seg_size, 0
	.set _ZL39rocblas_check_numerics_ge_matrix_kernelILi16ELi16EPK16rocblas_bfloat16EviiT1_lllP24rocblas_check_numerics_s.uses_vcc, 1
	.set _ZL39rocblas_check_numerics_ge_matrix_kernelILi16ELi16EPK16rocblas_bfloat16EviiT1_lllP24rocblas_check_numerics_s.uses_flat_scratch, 0
	.set _ZL39rocblas_check_numerics_ge_matrix_kernelILi16ELi16EPK16rocblas_bfloat16EviiT1_lllP24rocblas_check_numerics_s.has_dyn_sized_stack, 0
	.set _ZL39rocblas_check_numerics_ge_matrix_kernelILi16ELi16EPK16rocblas_bfloat16EviiT1_lllP24rocblas_check_numerics_s.has_recursion, 0
	.set _ZL39rocblas_check_numerics_ge_matrix_kernelILi16ELi16EPK16rocblas_bfloat16EviiT1_lllP24rocblas_check_numerics_s.has_indirect_call, 0
	.section	.AMDGPU.csdata,"",@progbits
; Kernel info:
; codeLenInByte = 740
; TotalNumSgprs: 16
; NumVgprs: 6
; ScratchSize: 0
; MemoryBound: 0
; FloatMode: 240
; IeeeMode: 1
; LDSByteSize: 0 bytes/workgroup (compile time only)
; SGPRBlocks: 0
; VGPRBlocks: 0
; NumSGPRsForWavesPerEU: 16
; NumVGPRsForWavesPerEU: 6
; NamedBarCnt: 0
; Occupancy: 16
; WaveLimiterHint : 0
; COMPUTE_PGM_RSRC2:SCRATCH_EN: 0
; COMPUTE_PGM_RSRC2:USER_SGPR: 2
; COMPUTE_PGM_RSRC2:TRAP_HANDLER: 0
; COMPUTE_PGM_RSRC2:TGID_X_EN: 1
; COMPUTE_PGM_RSRC2:TGID_Y_EN: 1
; COMPUTE_PGM_RSRC2:TGID_Z_EN: 1
; COMPUTE_PGM_RSRC2:TIDIG_COMP_CNT: 1
	.section	.text._ZL49rocblas_check_numerics_sym_herm_tri_matrix_kernelILi16ELi16EPK16rocblas_bfloat16EvbiT1_lllP24rocblas_check_numerics_s,"axG",@progbits,_ZL49rocblas_check_numerics_sym_herm_tri_matrix_kernelILi16ELi16EPK16rocblas_bfloat16EvbiT1_lllP24rocblas_check_numerics_s,comdat
	.globl	_ZL49rocblas_check_numerics_sym_herm_tri_matrix_kernelILi16ELi16EPK16rocblas_bfloat16EvbiT1_lllP24rocblas_check_numerics_s ; -- Begin function _ZL49rocblas_check_numerics_sym_herm_tri_matrix_kernelILi16ELi16EPK16rocblas_bfloat16EvbiT1_lllP24rocblas_check_numerics_s
	.p2align	8
	.type	_ZL49rocblas_check_numerics_sym_herm_tri_matrix_kernelILi16ELi16EPK16rocblas_bfloat16EvbiT1_lllP24rocblas_check_numerics_s,@function
_ZL49rocblas_check_numerics_sym_herm_tri_matrix_kernelILi16ELi16EPK16rocblas_bfloat16EvbiT1_lllP24rocblas_check_numerics_s: ; @_ZL49rocblas_check_numerics_sym_herm_tri_matrix_kernelILi16ELi16EPK16rocblas_bfloat16EvbiT1_lllP24rocblas_check_numerics_s
; %bb.0:
	s_clause 0x1
	s_load_b64 s[2:3], s[0:1], 0x0
	s_load_b32 s4, s[0:1], 0x3c
	s_bfe_u32 s6, ttmp6, 0x4000c
	s_bfe_u32 s8, ttmp6, 0x40010
	s_and_b32 s7, ttmp7, 0xffff
	s_add_co_i32 s6, s6, 1
	s_add_co_i32 s8, s8, 1
	s_and_b32 s5, ttmp6, 15
	s_bfe_u32 s9, ttmp6, 0x40004
	s_mul_i32 s6, ttmp9, s6
	s_mul_i32 s8, s7, s8
	s_getreg_b32 s12, hwreg(HW_REG_IB_STS2, 6, 4)
	v_and_b32_e32 v1, 0x3ff, v0
	v_bfe_u32 v2, v0, 10, 10
	s_add_co_i32 s5, s5, s6
	s_add_co_i32 s9, s9, s8
	s_wait_kmcnt 0x0
	s_and_b32 s2, s2, 1
	s_lshr_b32 s6, s4, 16
	s_and_b32 s4, s4, 0xffff
	s_cmp_eq_u32 s12, 0
	s_cselect_b32 s5, ttmp9, s5
	s_cselect_b32 s7, s7, s9
	v_mad_u32 v0, s5, s4, v1
	v_mad_u32 v2, s7, s6, v2
	s_mov_b32 s4, 0
	s_cmp_eq_u32 s2, 0
	s_mov_b32 s2, -1
	s_cbranch_scc1 .LBB45_4
; %bb.1:
	s_and_not1_b32 vcc_lo, exec_lo, s2
	s_cbranch_vccz .LBB45_5
.LBB45_2:
	s_and_saveexec_b32 s2, s4
	s_cbranch_execnz .LBB45_6
.LBB45_3:
	s_endpgm
.LBB45_4:
	s_delay_alu instid0(VALU_DEP_2) | instskip(NEXT) | instid1(VALU_DEP_2)
	v_cmp_gt_i32_e32 vcc_lo, s3, v0
	v_cmp_le_i32_e64 s2, v2, v0
	s_and_b32 s4, vcc_lo, s2
	s_delay_alu instid0(SALU_CYCLE_1)
	s_and_b32 s4, s4, exec_lo
	s_cbranch_execnz .LBB45_2
.LBB45_5:
	s_delay_alu instid0(VALU_DEP_1) | instskip(NEXT) | instid1(VALU_DEP_3)
	v_cmp_gt_i32_e32 vcc_lo, s3, v2
	v_cmp_le_i32_e64 s2, v0, v2
	s_and_not1_b32 s3, s4, exec_lo
	s_and_b32 s2, vcc_lo, s2
	s_delay_alu instid0(SALU_CYCLE_1) | instskip(NEXT) | instid1(SALU_CYCLE_1)
	s_and_b32 s2, s2, exec_lo
	s_or_b32 s4, s3, s2
	s_delay_alu instid0(SALU_CYCLE_1)
	s_and_saveexec_b32 s2, s4
	s_cbranch_execz .LBB45_3
.LBB45_6:
	s_load_b256 s[4:11], s[0:1], 0x8
	s_delay_alu instid0(VALU_DEP_1)
	v_dual_ashrrev_i32 v3, 31, v2 :: v_dual_ashrrev_i32 v1, 31, v0
	s_bfe_u32 s2, ttmp6, 0x40014
	s_bfe_u32 s13, ttmp6, 0x40008
	s_add_co_i32 s2, s2, 1
	s_wait_kmcnt 0x0
	v_mul_u64_e32 v[2:3], s[8:9], v[2:3]
	s_lshr_b32 s8, ttmp7, 16
	s_delay_alu instid0(SALU_CYCLE_1)
	s_mul_i32 s9, s8, s2
	s_load_b64 s[2:3], s[0:1], 0x28
	s_add_co_i32 s13, s13, s9
	s_cmp_eq_u32 s12, 0
	s_wait_xcnt 0x0
	s_mov_b32 s1, 0
	s_cselect_b32 s0, s8, s13
	s_delay_alu instid0(SALU_CYCLE_1) | instskip(NEXT) | instid1(SALU_CYCLE_1)
	s_mul_u64 s[0:1], s[10:11], s[0:1]
	s_lshl_b64 s[0:1], s[0:1], 1
	s_delay_alu instid0(SALU_CYCLE_1) | instskip(SKIP_1) | instid1(SALU_CYCLE_1)
	s_add_nc_u64 s[0:1], s[4:5], s[0:1]
	s_lshl_b64 s[4:5], s[6:7], 1
	s_add_nc_u64 s[0:1], s[0:1], s[4:5]
	s_delay_alu instid0(VALU_DEP_1) | instid1(SALU_CYCLE_1)
	v_lshl_add_u64 v[4:5], v[2:3], 1, s[0:1]
	v_mov_b32_e32 v2, 0
	s_delay_alu instid0(VALU_DEP_2)
	v_lshl_add_u64 v[4:5], v[0:1], 1, v[4:5]
	s_wait_kmcnt 0x0
	global_load_u8 v0, v2, s[2:3] offset:1
	global_load_u16 v1, v[4:5], off
	s_wait_loadcnt 0x1
	v_readfirstlane_b32 s0, v0
	s_wait_loadcnt 0x0
	v_and_b32_e32 v0, 0x7fff, v1
	s_bitcmp1_b32 s0, 0
	s_delay_alu instid0(VALU_DEP_1) | instskip(SKIP_1) | instid1(SALU_CYCLE_1)
	v_cmp_eq_u16_e32 vcc_lo, 0, v0
	s_cselect_b32 s0, -1, 0
	s_xor_b32 s0, s0, -1
	s_delay_alu instid0(SALU_CYCLE_1) | instskip(NEXT) | instid1(SALU_CYCLE_1)
	s_and_b32 s1, s0, vcc_lo
	s_and_saveexec_b32 s0, s1
	s_cbranch_execz .LBB45_8
; %bb.7:
	v_mov_b32_e32 v3, 1
	global_store_b8 v2, v3, s[2:3] offset:1
.LBB45_8:
	s_wait_xcnt 0x0
	s_or_b32 exec_lo, exec_lo, s0
	global_load_u8 v2, v2, s[2:3]
	s_wait_loadcnt 0x0
	v_and_b32_e32 v2, 1, v2
	s_delay_alu instid0(VALU_DEP_1)
	v_cmp_eq_u32_e32 vcc_lo, 1, v2
	s_cbranch_vccnz .LBB45_12
; %bb.9:
	v_and_b32_e32 v1, 0xffff, v1
	s_delay_alu instid0(VALU_DEP_1) | instskip(SKIP_1) | instid1(VALU_DEP_2)
	v_and_b32_e32 v2, 0x7f80, v1
	v_and_b32_e32 v1, 0x7f, v1
	v_cmp_eq_u32_e32 vcc_lo, 0x7f80, v2
	s_delay_alu instid0(VALU_DEP_2) | instskip(SKIP_1) | instid1(SALU_CYCLE_1)
	v_cmp_ne_u32_e64 s0, 0, v1
	s_and_b32 s1, vcc_lo, s0
	s_and_saveexec_b32 s0, s1
	s_cbranch_execz .LBB45_11
; %bb.10:
	v_dual_mov_b32 v1, 0 :: v_dual_mov_b32 v2, 1
	global_store_b8 v1, v2, s[2:3]
.LBB45_11:
	s_wait_xcnt 0x0
	s_or_b32 exec_lo, exec_lo, s0
.LBB45_12:
	v_mov_b32_e32 v1, 0
	v_cmp_eq_u16_e32 vcc_lo, 0x7f80, v0
	global_load_u8 v2, v1, s[2:3] offset:2
	s_wait_loadcnt 0x0
	v_readfirstlane_b32 s0, v2
	s_bitcmp1_b32 s0, 0
	s_cselect_b32 s0, -1, 0
	s_delay_alu instid0(SALU_CYCLE_1) | instskip(NEXT) | instid1(SALU_CYCLE_1)
	s_xor_b32 s0, s0, -1
	s_and_b32 s1, s0, vcc_lo
	s_wait_xcnt 0x0
	s_and_saveexec_b32 s0, s1
	s_cbranch_execz .LBB45_14
; %bb.13:
	v_mov_b32_e32 v2, 1
	global_store_b8 v1, v2, s[2:3] offset:2
.LBB45_14:
	s_wait_xcnt 0x0
	s_or_b32 exec_lo, exec_lo, s0
	global_load_u8 v1, v1, s[2:3] offset:3
	v_add_nc_u16 v0, 0xff80, v0
	s_delay_alu instid0(VALU_DEP_1) | instskip(SKIP_4) | instid1(SALU_CYCLE_1)
	v_cmp_lt_u16_e32 vcc_lo, 0xff80, v0
	s_wait_loadcnt 0x0
	v_readfirstlane_b32 s0, v1
	s_bitcmp1_b32 s0, 0
	s_cselect_b32 s0, -1, 0
	s_xor_b32 s0, s0, -1
	s_delay_alu instid0(SALU_CYCLE_1)
	s_and_b32 s0, s0, vcc_lo
	s_wait_xcnt 0x0
	s_and_b32 exec_lo, exec_lo, s0
	s_cbranch_execz .LBB45_3
; %bb.15:
	v_dual_mov_b32 v0, 0 :: v_dual_mov_b32 v1, 1
	global_store_b8 v0, v1, s[2:3] offset:3
	s_endpgm
	.section	.rodata,"a",@progbits
	.p2align	6, 0x0
	.amdhsa_kernel _ZL49rocblas_check_numerics_sym_herm_tri_matrix_kernelILi16ELi16EPK16rocblas_bfloat16EvbiT1_lllP24rocblas_check_numerics_s
		.amdhsa_group_segment_fixed_size 0
		.amdhsa_private_segment_fixed_size 0
		.amdhsa_kernarg_size 304
		.amdhsa_user_sgpr_count 2
		.amdhsa_user_sgpr_dispatch_ptr 0
		.amdhsa_user_sgpr_queue_ptr 0
		.amdhsa_user_sgpr_kernarg_segment_ptr 1
		.amdhsa_user_sgpr_dispatch_id 0
		.amdhsa_user_sgpr_kernarg_preload_length 0
		.amdhsa_user_sgpr_kernarg_preload_offset 0
		.amdhsa_user_sgpr_private_segment_size 0
		.amdhsa_wavefront_size32 1
		.amdhsa_uses_dynamic_stack 0
		.amdhsa_enable_private_segment 0
		.amdhsa_system_sgpr_workgroup_id_x 1
		.amdhsa_system_sgpr_workgroup_id_y 1
		.amdhsa_system_sgpr_workgroup_id_z 1
		.amdhsa_system_sgpr_workgroup_info 0
		.amdhsa_system_vgpr_workitem_id 1
		.amdhsa_next_free_vgpr 6
		.amdhsa_next_free_sgpr 14
		.amdhsa_named_barrier_count 0
		.amdhsa_reserve_vcc 1
		.amdhsa_float_round_mode_32 0
		.amdhsa_float_round_mode_16_64 0
		.amdhsa_float_denorm_mode_32 3
		.amdhsa_float_denorm_mode_16_64 3
		.amdhsa_fp16_overflow 0
		.amdhsa_memory_ordered 1
		.amdhsa_forward_progress 1
		.amdhsa_inst_pref_size 7
		.amdhsa_round_robin_scheduling 0
		.amdhsa_exception_fp_ieee_invalid_op 0
		.amdhsa_exception_fp_denorm_src 0
		.amdhsa_exception_fp_ieee_div_zero 0
		.amdhsa_exception_fp_ieee_overflow 0
		.amdhsa_exception_fp_ieee_underflow 0
		.amdhsa_exception_fp_ieee_inexact 0
		.amdhsa_exception_int_div_zero 0
	.end_amdhsa_kernel
	.section	.text._ZL49rocblas_check_numerics_sym_herm_tri_matrix_kernelILi16ELi16EPK16rocblas_bfloat16EvbiT1_lllP24rocblas_check_numerics_s,"axG",@progbits,_ZL49rocblas_check_numerics_sym_herm_tri_matrix_kernelILi16ELi16EPK16rocblas_bfloat16EvbiT1_lllP24rocblas_check_numerics_s,comdat
.Lfunc_end45:
	.size	_ZL49rocblas_check_numerics_sym_herm_tri_matrix_kernelILi16ELi16EPK16rocblas_bfloat16EvbiT1_lllP24rocblas_check_numerics_s, .Lfunc_end45-_ZL49rocblas_check_numerics_sym_herm_tri_matrix_kernelILi16ELi16EPK16rocblas_bfloat16EvbiT1_lllP24rocblas_check_numerics_s
                                        ; -- End function
	.set _ZL49rocblas_check_numerics_sym_herm_tri_matrix_kernelILi16ELi16EPK16rocblas_bfloat16EvbiT1_lllP24rocblas_check_numerics_s.num_vgpr, 6
	.set _ZL49rocblas_check_numerics_sym_herm_tri_matrix_kernelILi16ELi16EPK16rocblas_bfloat16EvbiT1_lllP24rocblas_check_numerics_s.num_agpr, 0
	.set _ZL49rocblas_check_numerics_sym_herm_tri_matrix_kernelILi16ELi16EPK16rocblas_bfloat16EvbiT1_lllP24rocblas_check_numerics_s.numbered_sgpr, 14
	.set _ZL49rocblas_check_numerics_sym_herm_tri_matrix_kernelILi16ELi16EPK16rocblas_bfloat16EvbiT1_lllP24rocblas_check_numerics_s.num_named_barrier, 0
	.set _ZL49rocblas_check_numerics_sym_herm_tri_matrix_kernelILi16ELi16EPK16rocblas_bfloat16EvbiT1_lllP24rocblas_check_numerics_s.private_seg_size, 0
	.set _ZL49rocblas_check_numerics_sym_herm_tri_matrix_kernelILi16ELi16EPK16rocblas_bfloat16EvbiT1_lllP24rocblas_check_numerics_s.uses_vcc, 1
	.set _ZL49rocblas_check_numerics_sym_herm_tri_matrix_kernelILi16ELi16EPK16rocblas_bfloat16EvbiT1_lllP24rocblas_check_numerics_s.uses_flat_scratch, 0
	.set _ZL49rocblas_check_numerics_sym_herm_tri_matrix_kernelILi16ELi16EPK16rocblas_bfloat16EvbiT1_lllP24rocblas_check_numerics_s.has_dyn_sized_stack, 0
	.set _ZL49rocblas_check_numerics_sym_herm_tri_matrix_kernelILi16ELi16EPK16rocblas_bfloat16EvbiT1_lllP24rocblas_check_numerics_s.has_recursion, 0
	.set _ZL49rocblas_check_numerics_sym_herm_tri_matrix_kernelILi16ELi16EPK16rocblas_bfloat16EvbiT1_lllP24rocblas_check_numerics_s.has_indirect_call, 0
	.section	.AMDGPU.csdata,"",@progbits
; Kernel info:
; codeLenInByte = 828
; TotalNumSgprs: 16
; NumVgprs: 6
; ScratchSize: 0
; MemoryBound: 0
; FloatMode: 240
; IeeeMode: 1
; LDSByteSize: 0 bytes/workgroup (compile time only)
; SGPRBlocks: 0
; VGPRBlocks: 0
; NumSGPRsForWavesPerEU: 16
; NumVGPRsForWavesPerEU: 6
; NamedBarCnt: 0
; Occupancy: 16
; WaveLimiterHint : 0
; COMPUTE_PGM_RSRC2:SCRATCH_EN: 0
; COMPUTE_PGM_RSRC2:USER_SGPR: 2
; COMPUTE_PGM_RSRC2:TRAP_HANDLER: 0
; COMPUTE_PGM_RSRC2:TGID_X_EN: 1
; COMPUTE_PGM_RSRC2:TGID_Y_EN: 1
; COMPUTE_PGM_RSRC2:TGID_Z_EN: 1
; COMPUTE_PGM_RSRC2:TIDIG_COMP_CNT: 1
	.section	.text._ZL39rocblas_check_numerics_ge_matrix_kernelILi16ELi16EPKPK16rocblas_bfloat16EviiT1_lllP24rocblas_check_numerics_s,"axG",@progbits,_ZL39rocblas_check_numerics_ge_matrix_kernelILi16ELi16EPKPK16rocblas_bfloat16EviiT1_lllP24rocblas_check_numerics_s,comdat
	.globl	_ZL39rocblas_check_numerics_ge_matrix_kernelILi16ELi16EPKPK16rocblas_bfloat16EviiT1_lllP24rocblas_check_numerics_s ; -- Begin function _ZL39rocblas_check_numerics_ge_matrix_kernelILi16ELi16EPKPK16rocblas_bfloat16EviiT1_lllP24rocblas_check_numerics_s
	.p2align	8
	.type	_ZL39rocblas_check_numerics_ge_matrix_kernelILi16ELi16EPKPK16rocblas_bfloat16EviiT1_lllP24rocblas_check_numerics_s,@function
_ZL39rocblas_check_numerics_ge_matrix_kernelILi16ELi16EPKPK16rocblas_bfloat16EviiT1_lllP24rocblas_check_numerics_s: ; @_ZL39rocblas_check_numerics_ge_matrix_kernelILi16ELi16EPKPK16rocblas_bfloat16EviiT1_lllP24rocblas_check_numerics_s
; %bb.0:
	s_clause 0x1
	s_load_b32 s2, s[0:1], 0x3c
	s_load_b64 s[4:5], s[0:1], 0x0
	s_bfe_u32 s7, ttmp6, 0x40010
	s_bfe_u32 s10, ttmp6, 0x4000c
	s_and_b32 s6, ttmp7, 0xffff
	s_add_co_i32 s7, s7, 1
	s_add_co_i32 s10, s10, 1
	s_bfe_u32 s8, ttmp6, 0x40004
	s_and_b32 s9, ttmp6, 15
	s_mul_i32 s7, s6, s7
	s_mul_i32 s10, ttmp9, s10
	s_getreg_b32 s3, hwreg(HW_REG_IB_STS2, 6, 4)
	v_and_b32_e32 v1, 0x3ff, v0
	v_bfe_u32 v2, v0, 10, 10
	s_add_co_i32 s8, s8, s7
	s_add_co_i32 s9, s9, s10
	s_wait_kmcnt 0x0
	s_lshr_b32 s7, s2, 16
	s_and_b32 s2, s2, 0xffff
	s_cmp_eq_u32 s3, 0
	s_cselect_b32 s9, ttmp9, s9
	s_cselect_b32 s6, s6, s8
	v_mad_u32 v0, s9, s2, v1
	v_mad_u32 v2, s6, s7, v2
	s_delay_alu instid0(VALU_DEP_2) | instskip(NEXT) | instid1(VALU_DEP_2)
	v_cmp_gt_i32_e32 vcc_lo, s4, v0
	v_cmp_gt_i32_e64 s2, s5, v2
	s_and_b32 s2, vcc_lo, s2
	s_delay_alu instid0(SALU_CYCLE_1)
	s_and_saveexec_b32 s4, s2
	s_cbranch_execz .LBB46_11
; %bb.1:
	s_clause 0x1
	s_load_b64 s[8:9], s[0:1], 0x18
	s_load_b128 s[4:7], s[0:1], 0x8
	v_dual_ashrrev_i32 v3, 31, v2 :: v_dual_ashrrev_i32 v1, 31, v0
	s_bfe_u32 s2, ttmp6, 0x40014
	s_lshr_b32 s10, ttmp7, 16
	s_add_co_i32 s2, s2, 1
	s_delay_alu instid0(SALU_CYCLE_1) | instskip(SKIP_3) | instid1(SALU_CYCLE_1)
	s_mul_i32 s2, s10, s2
	s_wait_kmcnt 0x0
	v_mul_u64_e32 v[2:3], s[8:9], v[2:3]
	s_bfe_u32 s8, ttmp6, 0x40008
	s_add_co_i32 s8, s8, s2
	s_cmp_eq_u32 s3, 0
	s_cselect_b32 s10, s10, s8
	s_load_b64 s[8:9], s[4:5], s10 offset:0x0 scale_offset
	s_load_b64 s[2:3], s[0:1], 0x28
	s_wait_xcnt 0x0
	s_lshl_b64 s[0:1], s[6:7], 1
	s_wait_kmcnt 0x0
	s_add_nc_u64 s[0:1], s[8:9], s[0:1]
	s_delay_alu instid0(VALU_DEP_1) | instid1(SALU_CYCLE_1)
	v_lshl_add_u64 v[4:5], v[2:3], 1, s[0:1]
	v_mov_b32_e32 v2, 0
	s_delay_alu instid0(VALU_DEP_2)
	v_lshl_add_u64 v[4:5], v[0:1], 1, v[4:5]
	global_load_u8 v0, v2, s[2:3] offset:1
	flat_load_u16 v1, v[4:5]
	s_wait_loadcnt 0x1
	v_readfirstlane_b32 s0, v0
	s_wait_loadcnt_dscnt 0x0
	v_and_b32_e32 v0, 0x7fff, v1
	s_bitcmp1_b32 s0, 0
	s_delay_alu instid0(VALU_DEP_1) | instskip(SKIP_1) | instid1(SALU_CYCLE_1)
	v_cmp_eq_u16_e32 vcc_lo, 0, v0
	s_cselect_b32 s0, -1, 0
	s_xor_b32 s0, s0, -1
	s_delay_alu instid0(SALU_CYCLE_1) | instskip(NEXT) | instid1(SALU_CYCLE_1)
	s_and_b32 s1, s0, vcc_lo
	s_and_saveexec_b32 s0, s1
	s_cbranch_execz .LBB46_3
; %bb.2:
	v_mov_b32_e32 v3, 1
	global_store_b8 v2, v3, s[2:3] offset:1
.LBB46_3:
	s_wait_xcnt 0x0
	s_or_b32 exec_lo, exec_lo, s0
	global_load_u8 v2, v2, s[2:3]
	s_wait_loadcnt 0x0
	v_and_b32_e32 v2, 1, v2
	s_delay_alu instid0(VALU_DEP_1)
	v_cmp_eq_u32_e32 vcc_lo, 1, v2
	s_cbranch_vccnz .LBB46_7
; %bb.4:
	v_and_b32_e32 v1, 0xffff, v1
	s_delay_alu instid0(VALU_DEP_1) | instskip(SKIP_1) | instid1(VALU_DEP_2)
	v_and_b32_e32 v2, 0x7f80, v1
	v_and_b32_e32 v1, 0x7f, v1
	v_cmp_eq_u32_e32 vcc_lo, 0x7f80, v2
	s_delay_alu instid0(VALU_DEP_2) | instskip(SKIP_1) | instid1(SALU_CYCLE_1)
	v_cmp_ne_u32_e64 s0, 0, v1
	s_and_b32 s1, vcc_lo, s0
	s_and_saveexec_b32 s0, s1
	s_cbranch_execz .LBB46_6
; %bb.5:
	v_dual_mov_b32 v1, 0 :: v_dual_mov_b32 v2, 1
	global_store_b8 v1, v2, s[2:3]
.LBB46_6:
	s_wait_xcnt 0x0
	s_or_b32 exec_lo, exec_lo, s0
.LBB46_7:
	v_mov_b32_e32 v1, 0
	v_cmp_eq_u16_e32 vcc_lo, 0x7f80, v0
	global_load_u8 v2, v1, s[2:3] offset:2
	s_wait_loadcnt 0x0
	v_readfirstlane_b32 s0, v2
	s_bitcmp1_b32 s0, 0
	s_cselect_b32 s0, -1, 0
	s_delay_alu instid0(SALU_CYCLE_1) | instskip(NEXT) | instid1(SALU_CYCLE_1)
	s_xor_b32 s0, s0, -1
	s_and_b32 s1, s0, vcc_lo
	s_wait_xcnt 0x0
	s_and_saveexec_b32 s0, s1
	s_cbranch_execz .LBB46_9
; %bb.8:
	v_mov_b32_e32 v2, 1
	global_store_b8 v1, v2, s[2:3] offset:2
.LBB46_9:
	s_wait_xcnt 0x0
	s_or_b32 exec_lo, exec_lo, s0
	global_load_u8 v1, v1, s[2:3] offset:3
	v_add_nc_u16 v0, 0xff80, v0
	s_delay_alu instid0(VALU_DEP_1) | instskip(SKIP_4) | instid1(SALU_CYCLE_1)
	v_cmp_lt_u16_e32 vcc_lo, 0xff80, v0
	s_wait_loadcnt 0x0
	v_readfirstlane_b32 s0, v1
	s_bitcmp1_b32 s0, 0
	s_cselect_b32 s0, -1, 0
	s_xor_b32 s0, s0, -1
	s_delay_alu instid0(SALU_CYCLE_1)
	s_and_b32 s0, s0, vcc_lo
	s_wait_xcnt 0x0
	s_and_b32 exec_lo, exec_lo, s0
	s_cbranch_execz .LBB46_11
; %bb.10:
	v_dual_mov_b32 v0, 0 :: v_dual_mov_b32 v1, 1
	global_store_b8 v0, v1, s[2:3] offset:3
.LBB46_11:
	s_endpgm
	.section	.rodata,"a",@progbits
	.p2align	6, 0x0
	.amdhsa_kernel _ZL39rocblas_check_numerics_ge_matrix_kernelILi16ELi16EPKPK16rocblas_bfloat16EviiT1_lllP24rocblas_check_numerics_s
		.amdhsa_group_segment_fixed_size 0
		.amdhsa_private_segment_fixed_size 0
		.amdhsa_kernarg_size 304
		.amdhsa_user_sgpr_count 2
		.amdhsa_user_sgpr_dispatch_ptr 0
		.amdhsa_user_sgpr_queue_ptr 0
		.amdhsa_user_sgpr_kernarg_segment_ptr 1
		.amdhsa_user_sgpr_dispatch_id 0
		.amdhsa_user_sgpr_kernarg_preload_length 0
		.amdhsa_user_sgpr_kernarg_preload_offset 0
		.amdhsa_user_sgpr_private_segment_size 0
		.amdhsa_wavefront_size32 1
		.amdhsa_uses_dynamic_stack 0
		.amdhsa_enable_private_segment 0
		.amdhsa_system_sgpr_workgroup_id_x 1
		.amdhsa_system_sgpr_workgroup_id_y 1
		.amdhsa_system_sgpr_workgroup_id_z 1
		.amdhsa_system_sgpr_workgroup_info 0
		.amdhsa_system_vgpr_workitem_id 1
		.amdhsa_next_free_vgpr 6
		.amdhsa_next_free_sgpr 11
		.amdhsa_named_barrier_count 0
		.amdhsa_reserve_vcc 1
		.amdhsa_float_round_mode_32 0
		.amdhsa_float_round_mode_16_64 0
		.amdhsa_float_denorm_mode_32 3
		.amdhsa_float_denorm_mode_16_64 3
		.amdhsa_fp16_overflow 0
		.amdhsa_memory_ordered 1
		.amdhsa_forward_progress 1
		.amdhsa_inst_pref_size 6
		.amdhsa_round_robin_scheduling 0
		.amdhsa_exception_fp_ieee_invalid_op 0
		.amdhsa_exception_fp_denorm_src 0
		.amdhsa_exception_fp_ieee_div_zero 0
		.amdhsa_exception_fp_ieee_overflow 0
		.amdhsa_exception_fp_ieee_underflow 0
		.amdhsa_exception_fp_ieee_inexact 0
		.amdhsa_exception_int_div_zero 0
	.end_amdhsa_kernel
	.section	.text._ZL39rocblas_check_numerics_ge_matrix_kernelILi16ELi16EPKPK16rocblas_bfloat16EviiT1_lllP24rocblas_check_numerics_s,"axG",@progbits,_ZL39rocblas_check_numerics_ge_matrix_kernelILi16ELi16EPKPK16rocblas_bfloat16EviiT1_lllP24rocblas_check_numerics_s,comdat
.Lfunc_end46:
	.size	_ZL39rocblas_check_numerics_ge_matrix_kernelILi16ELi16EPKPK16rocblas_bfloat16EviiT1_lllP24rocblas_check_numerics_s, .Lfunc_end46-_ZL39rocblas_check_numerics_ge_matrix_kernelILi16ELi16EPKPK16rocblas_bfloat16EviiT1_lllP24rocblas_check_numerics_s
                                        ; -- End function
	.set _ZL39rocblas_check_numerics_ge_matrix_kernelILi16ELi16EPKPK16rocblas_bfloat16EviiT1_lllP24rocblas_check_numerics_s.num_vgpr, 6
	.set _ZL39rocblas_check_numerics_ge_matrix_kernelILi16ELi16EPKPK16rocblas_bfloat16EviiT1_lllP24rocblas_check_numerics_s.num_agpr, 0
	.set _ZL39rocblas_check_numerics_ge_matrix_kernelILi16ELi16EPKPK16rocblas_bfloat16EviiT1_lllP24rocblas_check_numerics_s.numbered_sgpr, 11
	.set _ZL39rocblas_check_numerics_ge_matrix_kernelILi16ELi16EPKPK16rocblas_bfloat16EviiT1_lllP24rocblas_check_numerics_s.num_named_barrier, 0
	.set _ZL39rocblas_check_numerics_ge_matrix_kernelILi16ELi16EPKPK16rocblas_bfloat16EviiT1_lllP24rocblas_check_numerics_s.private_seg_size, 0
	.set _ZL39rocblas_check_numerics_ge_matrix_kernelILi16ELi16EPKPK16rocblas_bfloat16EviiT1_lllP24rocblas_check_numerics_s.uses_vcc, 1
	.set _ZL39rocblas_check_numerics_ge_matrix_kernelILi16ELi16EPKPK16rocblas_bfloat16EviiT1_lllP24rocblas_check_numerics_s.uses_flat_scratch, 0
	.set _ZL39rocblas_check_numerics_ge_matrix_kernelILi16ELi16EPKPK16rocblas_bfloat16EviiT1_lllP24rocblas_check_numerics_s.has_dyn_sized_stack, 0
	.set _ZL39rocblas_check_numerics_ge_matrix_kernelILi16ELi16EPKPK16rocblas_bfloat16EviiT1_lllP24rocblas_check_numerics_s.has_recursion, 0
	.set _ZL39rocblas_check_numerics_ge_matrix_kernelILi16ELi16EPKPK16rocblas_bfloat16EviiT1_lllP24rocblas_check_numerics_s.has_indirect_call, 0
	.section	.AMDGPU.csdata,"",@progbits
; Kernel info:
; codeLenInByte = 732
; TotalNumSgprs: 13
; NumVgprs: 6
; ScratchSize: 0
; MemoryBound: 0
; FloatMode: 240
; IeeeMode: 1
; LDSByteSize: 0 bytes/workgroup (compile time only)
; SGPRBlocks: 0
; VGPRBlocks: 0
; NumSGPRsForWavesPerEU: 13
; NumVGPRsForWavesPerEU: 6
; NamedBarCnt: 0
; Occupancy: 16
; WaveLimiterHint : 1
; COMPUTE_PGM_RSRC2:SCRATCH_EN: 0
; COMPUTE_PGM_RSRC2:USER_SGPR: 2
; COMPUTE_PGM_RSRC2:TRAP_HANDLER: 0
; COMPUTE_PGM_RSRC2:TGID_X_EN: 1
; COMPUTE_PGM_RSRC2:TGID_Y_EN: 1
; COMPUTE_PGM_RSRC2:TGID_Z_EN: 1
; COMPUTE_PGM_RSRC2:TIDIG_COMP_CNT: 1
	.section	.text._ZL49rocblas_check_numerics_sym_herm_tri_matrix_kernelILi16ELi16EPKPK16rocblas_bfloat16EvbiT1_lllP24rocblas_check_numerics_s,"axG",@progbits,_ZL49rocblas_check_numerics_sym_herm_tri_matrix_kernelILi16ELi16EPKPK16rocblas_bfloat16EvbiT1_lllP24rocblas_check_numerics_s,comdat
	.globl	_ZL49rocblas_check_numerics_sym_herm_tri_matrix_kernelILi16ELi16EPKPK16rocblas_bfloat16EvbiT1_lllP24rocblas_check_numerics_s ; -- Begin function _ZL49rocblas_check_numerics_sym_herm_tri_matrix_kernelILi16ELi16EPKPK16rocblas_bfloat16EvbiT1_lllP24rocblas_check_numerics_s
	.p2align	8
	.type	_ZL49rocblas_check_numerics_sym_herm_tri_matrix_kernelILi16ELi16EPKPK16rocblas_bfloat16EvbiT1_lllP24rocblas_check_numerics_s,@function
_ZL49rocblas_check_numerics_sym_herm_tri_matrix_kernelILi16ELi16EPKPK16rocblas_bfloat16EvbiT1_lllP24rocblas_check_numerics_s: ; @_ZL49rocblas_check_numerics_sym_herm_tri_matrix_kernelILi16ELi16EPKPK16rocblas_bfloat16EvbiT1_lllP24rocblas_check_numerics_s
; %bb.0:
	s_clause 0x1
	s_load_b64 s[2:3], s[0:1], 0x0
	s_load_b32 s5, s[0:1], 0x3c
	s_bfe_u32 s7, ttmp6, 0x4000c
	s_bfe_u32 s9, ttmp6, 0x40010
	s_and_b32 s8, ttmp7, 0xffff
	s_add_co_i32 s7, s7, 1
	s_add_co_i32 s9, s9, 1
	s_and_b32 s6, ttmp6, 15
	s_bfe_u32 s10, ttmp6, 0x40004
	s_mul_i32 s7, ttmp9, s7
	s_mul_i32 s9, s8, s9
	s_getreg_b32 s4, hwreg(HW_REG_IB_STS2, 6, 4)
	v_and_b32_e32 v1, 0x3ff, v0
	v_bfe_u32 v2, v0, 10, 10
	s_add_co_i32 s6, s6, s7
	s_add_co_i32 s10, s10, s9
	s_wait_kmcnt 0x0
	s_and_b32 s2, s2, 1
	s_lshr_b32 s7, s5, 16
	s_and_b32 s5, s5, 0xffff
	s_cmp_eq_u32 s4, 0
	s_cselect_b32 s6, ttmp9, s6
	s_cselect_b32 s8, s8, s10
	v_mad_u32 v0, s6, s5, v1
	v_mad_u32 v2, s8, s7, v2
	s_mov_b32 s5, 0
	s_cmp_eq_u32 s2, 0
	s_mov_b32 s2, -1
	s_cbranch_scc1 .LBB47_4
; %bb.1:
	s_and_not1_b32 vcc_lo, exec_lo, s2
	s_cbranch_vccz .LBB47_5
.LBB47_2:
	s_and_saveexec_b32 s2, s5
	s_cbranch_execnz .LBB47_6
.LBB47_3:
	s_endpgm
.LBB47_4:
	s_delay_alu instid0(VALU_DEP_2) | instskip(NEXT) | instid1(VALU_DEP_2)
	v_cmp_gt_i32_e32 vcc_lo, s3, v0
	v_cmp_le_i32_e64 s2, v2, v0
	s_and_b32 s5, vcc_lo, s2
	s_delay_alu instid0(SALU_CYCLE_1)
	s_and_b32 s5, s5, exec_lo
	s_cbranch_execnz .LBB47_2
.LBB47_5:
	s_delay_alu instid0(VALU_DEP_1) | instskip(NEXT) | instid1(VALU_DEP_3)
	v_cmp_gt_i32_e32 vcc_lo, s3, v2
	v_cmp_le_i32_e64 s2, v0, v2
	s_and_not1_b32 s3, s5, exec_lo
	s_and_b32 s2, vcc_lo, s2
	s_delay_alu instid0(SALU_CYCLE_1) | instskip(NEXT) | instid1(SALU_CYCLE_1)
	s_and_b32 s2, s2, exec_lo
	s_or_b32 s5, s3, s2
	s_delay_alu instid0(SALU_CYCLE_1)
	s_and_saveexec_b32 s2, s5
	s_cbranch_execz .LBB47_3
.LBB47_6:
	s_clause 0x1
	s_load_b64 s[2:3], s[0:1], 0x18
	s_load_b128 s[8:11], s[0:1], 0x8
	v_dual_ashrrev_i32 v3, 31, v2 :: v_dual_ashrrev_i32 v1, 31, v0
	s_bfe_u32 s5, ttmp6, 0x40014
	s_lshr_b32 s6, ttmp7, 16
	s_add_co_i32 s5, s5, 1
	s_wait_kmcnt 0x0
	v_mul_u64_e32 v[2:3], s[2:3], v[2:3]
	s_mul_i32 s2, s6, s5
	s_bfe_u32 s3, ttmp6, 0x40008
	s_delay_alu instid0(SALU_CYCLE_1)
	s_add_co_i32 s3, s3, s2
	s_cmp_eq_u32 s4, 0
	s_cselect_b32 s6, s6, s3
	s_load_b64 s[4:5], s[8:9], s6 offset:0x0 scale_offset
	s_load_b64 s[2:3], s[0:1], 0x28
	s_wait_xcnt 0x0
	s_lshl_b64 s[0:1], s[10:11], 1
	s_wait_kmcnt 0x0
	s_add_nc_u64 s[0:1], s[4:5], s[0:1]
	s_delay_alu instid0(VALU_DEP_1) | instid1(SALU_CYCLE_1)
	v_lshl_add_u64 v[4:5], v[2:3], 1, s[0:1]
	v_mov_b32_e32 v2, 0
	s_delay_alu instid0(VALU_DEP_2)
	v_lshl_add_u64 v[4:5], v[0:1], 1, v[4:5]
	global_load_u8 v0, v2, s[2:3] offset:1
	flat_load_u16 v1, v[4:5]
	s_wait_loadcnt 0x1
	v_readfirstlane_b32 s0, v0
	s_wait_loadcnt_dscnt 0x0
	v_and_b32_e32 v0, 0x7fff, v1
	s_bitcmp1_b32 s0, 0
	s_delay_alu instid0(VALU_DEP_1) | instskip(SKIP_1) | instid1(SALU_CYCLE_1)
	v_cmp_eq_u16_e32 vcc_lo, 0, v0
	s_cselect_b32 s0, -1, 0
	s_xor_b32 s0, s0, -1
	s_delay_alu instid0(SALU_CYCLE_1) | instskip(NEXT) | instid1(SALU_CYCLE_1)
	s_and_b32 s1, s0, vcc_lo
	s_and_saveexec_b32 s0, s1
	s_cbranch_execz .LBB47_8
; %bb.7:
	v_mov_b32_e32 v3, 1
	global_store_b8 v2, v3, s[2:3] offset:1
.LBB47_8:
	s_wait_xcnt 0x0
	s_or_b32 exec_lo, exec_lo, s0
	global_load_u8 v2, v2, s[2:3]
	s_wait_loadcnt 0x0
	v_and_b32_e32 v2, 1, v2
	s_delay_alu instid0(VALU_DEP_1)
	v_cmp_eq_u32_e32 vcc_lo, 1, v2
	s_cbranch_vccnz .LBB47_12
; %bb.9:
	v_and_b32_e32 v1, 0xffff, v1
	s_delay_alu instid0(VALU_DEP_1) | instskip(SKIP_1) | instid1(VALU_DEP_2)
	v_and_b32_e32 v2, 0x7f80, v1
	v_and_b32_e32 v1, 0x7f, v1
	v_cmp_eq_u32_e32 vcc_lo, 0x7f80, v2
	s_delay_alu instid0(VALU_DEP_2) | instskip(SKIP_1) | instid1(SALU_CYCLE_1)
	v_cmp_ne_u32_e64 s0, 0, v1
	s_and_b32 s1, vcc_lo, s0
	s_and_saveexec_b32 s0, s1
	s_cbranch_execz .LBB47_11
; %bb.10:
	v_dual_mov_b32 v1, 0 :: v_dual_mov_b32 v2, 1
	global_store_b8 v1, v2, s[2:3]
.LBB47_11:
	s_wait_xcnt 0x0
	s_or_b32 exec_lo, exec_lo, s0
.LBB47_12:
	v_mov_b32_e32 v1, 0
	v_cmp_eq_u16_e32 vcc_lo, 0x7f80, v0
	global_load_u8 v2, v1, s[2:3] offset:2
	s_wait_loadcnt 0x0
	v_readfirstlane_b32 s0, v2
	s_bitcmp1_b32 s0, 0
	s_cselect_b32 s0, -1, 0
	s_delay_alu instid0(SALU_CYCLE_1) | instskip(NEXT) | instid1(SALU_CYCLE_1)
	s_xor_b32 s0, s0, -1
	s_and_b32 s1, s0, vcc_lo
	s_wait_xcnt 0x0
	s_and_saveexec_b32 s0, s1
	s_cbranch_execz .LBB47_14
; %bb.13:
	v_mov_b32_e32 v2, 1
	global_store_b8 v1, v2, s[2:3] offset:2
.LBB47_14:
	s_wait_xcnt 0x0
	s_or_b32 exec_lo, exec_lo, s0
	global_load_u8 v1, v1, s[2:3] offset:3
	v_add_nc_u16 v0, 0xff80, v0
	s_delay_alu instid0(VALU_DEP_1) | instskip(SKIP_4) | instid1(SALU_CYCLE_1)
	v_cmp_lt_u16_e32 vcc_lo, 0xff80, v0
	s_wait_loadcnt 0x0
	v_readfirstlane_b32 s0, v1
	s_bitcmp1_b32 s0, 0
	s_cselect_b32 s0, -1, 0
	s_xor_b32 s0, s0, -1
	s_delay_alu instid0(SALU_CYCLE_1)
	s_and_b32 s0, s0, vcc_lo
	s_wait_xcnt 0x0
	s_and_b32 exec_lo, exec_lo, s0
	s_cbranch_execz .LBB47_3
; %bb.15:
	v_dual_mov_b32 v0, 0 :: v_dual_mov_b32 v1, 1
	global_store_b8 v0, v1, s[2:3] offset:3
	s_endpgm
	.section	.rodata,"a",@progbits
	.p2align	6, 0x0
	.amdhsa_kernel _ZL49rocblas_check_numerics_sym_herm_tri_matrix_kernelILi16ELi16EPKPK16rocblas_bfloat16EvbiT1_lllP24rocblas_check_numerics_s
		.amdhsa_group_segment_fixed_size 0
		.amdhsa_private_segment_fixed_size 0
		.amdhsa_kernarg_size 304
		.amdhsa_user_sgpr_count 2
		.amdhsa_user_sgpr_dispatch_ptr 0
		.amdhsa_user_sgpr_queue_ptr 0
		.amdhsa_user_sgpr_kernarg_segment_ptr 1
		.amdhsa_user_sgpr_dispatch_id 0
		.amdhsa_user_sgpr_kernarg_preload_length 0
		.amdhsa_user_sgpr_kernarg_preload_offset 0
		.amdhsa_user_sgpr_private_segment_size 0
		.amdhsa_wavefront_size32 1
		.amdhsa_uses_dynamic_stack 0
		.amdhsa_enable_private_segment 0
		.amdhsa_system_sgpr_workgroup_id_x 1
		.amdhsa_system_sgpr_workgroup_id_y 1
		.amdhsa_system_sgpr_workgroup_id_z 1
		.amdhsa_system_sgpr_workgroup_info 0
		.amdhsa_system_vgpr_workitem_id 1
		.amdhsa_next_free_vgpr 6
		.amdhsa_next_free_sgpr 12
		.amdhsa_named_barrier_count 0
		.amdhsa_reserve_vcc 1
		.amdhsa_float_round_mode_32 0
		.amdhsa_float_round_mode_16_64 0
		.amdhsa_float_denorm_mode_32 3
		.amdhsa_float_denorm_mode_16_64 3
		.amdhsa_fp16_overflow 0
		.amdhsa_memory_ordered 1
		.amdhsa_forward_progress 1
		.amdhsa_inst_pref_size 7
		.amdhsa_round_robin_scheduling 0
		.amdhsa_exception_fp_ieee_invalid_op 0
		.amdhsa_exception_fp_denorm_src 0
		.amdhsa_exception_fp_ieee_div_zero 0
		.amdhsa_exception_fp_ieee_overflow 0
		.amdhsa_exception_fp_ieee_underflow 0
		.amdhsa_exception_fp_ieee_inexact 0
		.amdhsa_exception_int_div_zero 0
	.end_amdhsa_kernel
	.section	.text._ZL49rocblas_check_numerics_sym_herm_tri_matrix_kernelILi16ELi16EPKPK16rocblas_bfloat16EvbiT1_lllP24rocblas_check_numerics_s,"axG",@progbits,_ZL49rocblas_check_numerics_sym_herm_tri_matrix_kernelILi16ELi16EPKPK16rocblas_bfloat16EvbiT1_lllP24rocblas_check_numerics_s,comdat
.Lfunc_end47:
	.size	_ZL49rocblas_check_numerics_sym_herm_tri_matrix_kernelILi16ELi16EPKPK16rocblas_bfloat16EvbiT1_lllP24rocblas_check_numerics_s, .Lfunc_end47-_ZL49rocblas_check_numerics_sym_herm_tri_matrix_kernelILi16ELi16EPKPK16rocblas_bfloat16EvbiT1_lllP24rocblas_check_numerics_s
                                        ; -- End function
	.set _ZL49rocblas_check_numerics_sym_herm_tri_matrix_kernelILi16ELi16EPKPK16rocblas_bfloat16EvbiT1_lllP24rocblas_check_numerics_s.num_vgpr, 6
	.set _ZL49rocblas_check_numerics_sym_herm_tri_matrix_kernelILi16ELi16EPKPK16rocblas_bfloat16EvbiT1_lllP24rocblas_check_numerics_s.num_agpr, 0
	.set _ZL49rocblas_check_numerics_sym_herm_tri_matrix_kernelILi16ELi16EPKPK16rocblas_bfloat16EvbiT1_lllP24rocblas_check_numerics_s.numbered_sgpr, 12
	.set _ZL49rocblas_check_numerics_sym_herm_tri_matrix_kernelILi16ELi16EPKPK16rocblas_bfloat16EvbiT1_lllP24rocblas_check_numerics_s.num_named_barrier, 0
	.set _ZL49rocblas_check_numerics_sym_herm_tri_matrix_kernelILi16ELi16EPKPK16rocblas_bfloat16EvbiT1_lllP24rocblas_check_numerics_s.private_seg_size, 0
	.set _ZL49rocblas_check_numerics_sym_herm_tri_matrix_kernelILi16ELi16EPKPK16rocblas_bfloat16EvbiT1_lllP24rocblas_check_numerics_s.uses_vcc, 1
	.set _ZL49rocblas_check_numerics_sym_herm_tri_matrix_kernelILi16ELi16EPKPK16rocblas_bfloat16EvbiT1_lllP24rocblas_check_numerics_s.uses_flat_scratch, 0
	.set _ZL49rocblas_check_numerics_sym_herm_tri_matrix_kernelILi16ELi16EPKPK16rocblas_bfloat16EvbiT1_lllP24rocblas_check_numerics_s.has_dyn_sized_stack, 0
	.set _ZL49rocblas_check_numerics_sym_herm_tri_matrix_kernelILi16ELi16EPKPK16rocblas_bfloat16EvbiT1_lllP24rocblas_check_numerics_s.has_recursion, 0
	.set _ZL49rocblas_check_numerics_sym_herm_tri_matrix_kernelILi16ELi16EPKPK16rocblas_bfloat16EvbiT1_lllP24rocblas_check_numerics_s.has_indirect_call, 0
	.section	.AMDGPU.csdata,"",@progbits
; Kernel info:
; codeLenInByte = 820
; TotalNumSgprs: 14
; NumVgprs: 6
; ScratchSize: 0
; MemoryBound: 0
; FloatMode: 240
; IeeeMode: 1
; LDSByteSize: 0 bytes/workgroup (compile time only)
; SGPRBlocks: 0
; VGPRBlocks: 0
; NumSGPRsForWavesPerEU: 14
; NumVGPRsForWavesPerEU: 6
; NamedBarCnt: 0
; Occupancy: 16
; WaveLimiterHint : 1
; COMPUTE_PGM_RSRC2:SCRATCH_EN: 0
; COMPUTE_PGM_RSRC2:USER_SGPR: 2
; COMPUTE_PGM_RSRC2:TRAP_HANDLER: 0
; COMPUTE_PGM_RSRC2:TGID_X_EN: 1
; COMPUTE_PGM_RSRC2:TGID_Y_EN: 1
; COMPUTE_PGM_RSRC2:TGID_Z_EN: 1
; COMPUTE_PGM_RSRC2:TIDIG_COMP_CNT: 1
	.section	.AMDGPU.gpr_maximums,"",@progbits
	.set amdgpu.max_num_vgpr, 0
	.set amdgpu.max_num_agpr, 0
	.set amdgpu.max_num_sgpr, 0
	.section	.AMDGPU.csdata,"",@progbits
	.type	__hip_cuid_5930c05370d6d376,@object ; @__hip_cuid_5930c05370d6d376
	.section	.bss,"aw",@nobits
	.globl	__hip_cuid_5930c05370d6d376
__hip_cuid_5930c05370d6d376:
	.byte	0                               ; 0x0
	.size	__hip_cuid_5930c05370d6d376, 1

	.ident	"AMD clang version 22.0.0git (https://github.com/RadeonOpenCompute/llvm-project roc-7.2.4 26084 f58b06dce1f9c15707c5f808fd002e18c2accf7e)"
	.section	".note.GNU-stack","",@progbits
	.addrsig
	.addrsig_sym __hip_cuid_5930c05370d6d376
	.amdgpu_metadata
---
amdhsa.kernels:
  - .args:
      - .offset:         0
        .size:           4
        .value_kind:     by_value
      - .offset:         4
        .size:           4
        .value_kind:     by_value
      - .address_space:  global
        .offset:         8
        .size:           8
        .value_kind:     global_buffer
      - .offset:         16
        .size:           8
        .value_kind:     by_value
      - .offset:         24
        .size:           8
        .value_kind:     by_value
      - .offset:         32
        .size:           8
        .value_kind:     by_value
      - .address_space:  global
        .offset:         40
        .size:           8
        .value_kind:     global_buffer
      - .offset:         48
        .size:           4
        .value_kind:     hidden_block_count_x
      - .offset:         52
        .size:           4
        .value_kind:     hidden_block_count_y
      - .offset:         56
        .size:           4
        .value_kind:     hidden_block_count_z
      - .offset:         60
        .size:           2
        .value_kind:     hidden_group_size_x
      - .offset:         62
        .size:           2
        .value_kind:     hidden_group_size_y
      - .offset:         64
        .size:           2
        .value_kind:     hidden_group_size_z
      - .offset:         66
        .size:           2
        .value_kind:     hidden_remainder_x
      - .offset:         68
        .size:           2
        .value_kind:     hidden_remainder_y
      - .offset:         70
        .size:           2
        .value_kind:     hidden_remainder_z
      - .offset:         88
        .size:           8
        .value_kind:     hidden_global_offset_x
      - .offset:         96
        .size:           8
        .value_kind:     hidden_global_offset_y
      - .offset:         104
        .size:           8
        .value_kind:     hidden_global_offset_z
      - .offset:         112
        .size:           2
        .value_kind:     hidden_grid_dims
    .group_segment_fixed_size: 0
    .kernarg_segment_align: 8
    .kernarg_segment_size: 304
    .language:       OpenCL C
    .language_version:
      - 2
      - 0
    .max_flat_workgroup_size: 256
    .name:           _ZL39rocblas_check_numerics_ge_matrix_kernelILi16ELi16EPfEviiT1_lllP24rocblas_check_numerics_s
    .private_segment_fixed_size: 0
    .sgpr_count:     16
    .sgpr_spill_count: 0
    .symbol:         _ZL39rocblas_check_numerics_ge_matrix_kernelILi16ELi16EPfEviiT1_lllP24rocblas_check_numerics_s.kd
    .uniform_work_group_size: 1
    .uses_dynamic_stack: false
    .vgpr_count:     6
    .vgpr_spill_count: 0
    .wavefront_size: 32
  - .args:
      - .offset:         0
        .size:           1
        .value_kind:     by_value
      - .offset:         4
        .size:           4
        .value_kind:     by_value
      - .address_space:  global
        .offset:         8
        .size:           8
        .value_kind:     global_buffer
      - .offset:         16
        .size:           8
        .value_kind:     by_value
      - .offset:         24
        .size:           8
        .value_kind:     by_value
      - .offset:         32
        .size:           8
        .value_kind:     by_value
      - .address_space:  global
        .offset:         40
        .size:           8
        .value_kind:     global_buffer
      - .offset:         48
        .size:           4
        .value_kind:     hidden_block_count_x
      - .offset:         52
        .size:           4
        .value_kind:     hidden_block_count_y
      - .offset:         56
        .size:           4
        .value_kind:     hidden_block_count_z
      - .offset:         60
        .size:           2
        .value_kind:     hidden_group_size_x
      - .offset:         62
        .size:           2
        .value_kind:     hidden_group_size_y
      - .offset:         64
        .size:           2
        .value_kind:     hidden_group_size_z
      - .offset:         66
        .size:           2
        .value_kind:     hidden_remainder_x
      - .offset:         68
        .size:           2
        .value_kind:     hidden_remainder_y
      - .offset:         70
        .size:           2
        .value_kind:     hidden_remainder_z
      - .offset:         88
        .size:           8
        .value_kind:     hidden_global_offset_x
      - .offset:         96
        .size:           8
        .value_kind:     hidden_global_offset_y
      - .offset:         104
        .size:           8
        .value_kind:     hidden_global_offset_z
      - .offset:         112
        .size:           2
        .value_kind:     hidden_grid_dims
    .group_segment_fixed_size: 0
    .kernarg_segment_align: 8
    .kernarg_segment_size: 304
    .language:       OpenCL C
    .language_version:
      - 2
      - 0
    .max_flat_workgroup_size: 256
    .name:           _ZL49rocblas_check_numerics_sym_herm_tri_matrix_kernelILi16ELi16EPfEvbiT1_lllP24rocblas_check_numerics_s
    .private_segment_fixed_size: 0
    .sgpr_count:     15
    .sgpr_spill_count: 0
    .symbol:         _ZL49rocblas_check_numerics_sym_herm_tri_matrix_kernelILi16ELi16EPfEvbiT1_lllP24rocblas_check_numerics_s.kd
    .uniform_work_group_size: 1
    .uses_dynamic_stack: false
    .vgpr_count:     6
    .vgpr_spill_count: 0
    .wavefront_size: 32
  - .args:
      - .offset:         0
        .size:           4
        .value_kind:     by_value
      - .offset:         4
        .size:           4
        .value_kind:     by_value
      - .address_space:  global
        .offset:         8
        .size:           8
        .value_kind:     global_buffer
      - .offset:         16
        .size:           8
        .value_kind:     by_value
      - .offset:         24
        .size:           8
        .value_kind:     by_value
      - .offset:         32
        .size:           8
        .value_kind:     by_value
      - .address_space:  global
        .offset:         40
        .size:           8
        .value_kind:     global_buffer
      - .offset:         48
        .size:           4
        .value_kind:     hidden_block_count_x
      - .offset:         52
        .size:           4
        .value_kind:     hidden_block_count_y
      - .offset:         56
        .size:           4
        .value_kind:     hidden_block_count_z
      - .offset:         60
        .size:           2
        .value_kind:     hidden_group_size_x
      - .offset:         62
        .size:           2
        .value_kind:     hidden_group_size_y
      - .offset:         64
        .size:           2
        .value_kind:     hidden_group_size_z
      - .offset:         66
        .size:           2
        .value_kind:     hidden_remainder_x
      - .offset:         68
        .size:           2
        .value_kind:     hidden_remainder_y
      - .offset:         70
        .size:           2
        .value_kind:     hidden_remainder_z
      - .offset:         88
        .size:           8
        .value_kind:     hidden_global_offset_x
      - .offset:         96
        .size:           8
        .value_kind:     hidden_global_offset_y
      - .offset:         104
        .size:           8
        .value_kind:     hidden_global_offset_z
      - .offset:         112
        .size:           2
        .value_kind:     hidden_grid_dims
    .group_segment_fixed_size: 0
    .kernarg_segment_align: 8
    .kernarg_segment_size: 304
    .language:       OpenCL C
    .language_version:
      - 2
      - 0
    .max_flat_workgroup_size: 256
    .name:           _ZL39rocblas_check_numerics_ge_matrix_kernelILi16ELi16EPKPfEviiT1_lllP24rocblas_check_numerics_s
    .private_segment_fixed_size: 0
    .sgpr_count:     13
    .sgpr_spill_count: 0
    .symbol:         _ZL39rocblas_check_numerics_ge_matrix_kernelILi16ELi16EPKPfEviiT1_lllP24rocblas_check_numerics_s.kd
    .uniform_work_group_size: 1
    .uses_dynamic_stack: false
    .vgpr_count:     6
    .vgpr_spill_count: 0
    .wavefront_size: 32
  - .args:
      - .offset:         0
        .size:           1
        .value_kind:     by_value
      - .offset:         4
        .size:           4
        .value_kind:     by_value
      - .address_space:  global
        .offset:         8
        .size:           8
        .value_kind:     global_buffer
      - .offset:         16
        .size:           8
        .value_kind:     by_value
      - .offset:         24
        .size:           8
        .value_kind:     by_value
      - .offset:         32
        .size:           8
        .value_kind:     by_value
      - .address_space:  global
        .offset:         40
        .size:           8
        .value_kind:     global_buffer
      - .offset:         48
        .size:           4
        .value_kind:     hidden_block_count_x
      - .offset:         52
        .size:           4
        .value_kind:     hidden_block_count_y
      - .offset:         56
        .size:           4
        .value_kind:     hidden_block_count_z
      - .offset:         60
        .size:           2
        .value_kind:     hidden_group_size_x
      - .offset:         62
        .size:           2
        .value_kind:     hidden_group_size_y
      - .offset:         64
        .size:           2
        .value_kind:     hidden_group_size_z
      - .offset:         66
        .size:           2
        .value_kind:     hidden_remainder_x
      - .offset:         68
        .size:           2
        .value_kind:     hidden_remainder_y
      - .offset:         70
        .size:           2
        .value_kind:     hidden_remainder_z
      - .offset:         88
        .size:           8
        .value_kind:     hidden_global_offset_x
      - .offset:         96
        .size:           8
        .value_kind:     hidden_global_offset_y
      - .offset:         104
        .size:           8
        .value_kind:     hidden_global_offset_z
      - .offset:         112
        .size:           2
        .value_kind:     hidden_grid_dims
    .group_segment_fixed_size: 0
    .kernarg_segment_align: 8
    .kernarg_segment_size: 304
    .language:       OpenCL C
    .language_version:
      - 2
      - 0
    .max_flat_workgroup_size: 256
    .name:           _ZL49rocblas_check_numerics_sym_herm_tri_matrix_kernelILi16ELi16EPKPfEvbiT1_lllP24rocblas_check_numerics_s
    .private_segment_fixed_size: 0
    .sgpr_count:     14
    .sgpr_spill_count: 0
    .symbol:         _ZL49rocblas_check_numerics_sym_herm_tri_matrix_kernelILi16ELi16EPKPfEvbiT1_lllP24rocblas_check_numerics_s.kd
    .uniform_work_group_size: 1
    .uses_dynamic_stack: false
    .vgpr_count:     6
    .vgpr_spill_count: 0
    .wavefront_size: 32
  - .args:
      - .offset:         0
        .size:           4
        .value_kind:     by_value
      - .offset:         4
        .size:           4
        .value_kind:     by_value
      - .address_space:  global
        .offset:         8
        .size:           8
        .value_kind:     global_buffer
      - .offset:         16
        .size:           8
        .value_kind:     by_value
      - .offset:         24
        .size:           8
        .value_kind:     by_value
      - .offset:         32
        .size:           8
        .value_kind:     by_value
      - .address_space:  global
        .offset:         40
        .size:           8
        .value_kind:     global_buffer
      - .offset:         48
        .size:           4
        .value_kind:     hidden_block_count_x
      - .offset:         52
        .size:           4
        .value_kind:     hidden_block_count_y
      - .offset:         56
        .size:           4
        .value_kind:     hidden_block_count_z
      - .offset:         60
        .size:           2
        .value_kind:     hidden_group_size_x
      - .offset:         62
        .size:           2
        .value_kind:     hidden_group_size_y
      - .offset:         64
        .size:           2
        .value_kind:     hidden_group_size_z
      - .offset:         66
        .size:           2
        .value_kind:     hidden_remainder_x
      - .offset:         68
        .size:           2
        .value_kind:     hidden_remainder_y
      - .offset:         70
        .size:           2
        .value_kind:     hidden_remainder_z
      - .offset:         88
        .size:           8
        .value_kind:     hidden_global_offset_x
      - .offset:         96
        .size:           8
        .value_kind:     hidden_global_offset_y
      - .offset:         104
        .size:           8
        .value_kind:     hidden_global_offset_z
      - .offset:         112
        .size:           2
        .value_kind:     hidden_grid_dims
    .group_segment_fixed_size: 0
    .kernarg_segment_align: 8
    .kernarg_segment_size: 304
    .language:       OpenCL C
    .language_version:
      - 2
      - 0
    .max_flat_workgroup_size: 256
    .name:           _ZL39rocblas_check_numerics_ge_matrix_kernelILi16ELi16EPKfEviiT1_lllP24rocblas_check_numerics_s
    .private_segment_fixed_size: 0
    .sgpr_count:     16
    .sgpr_spill_count: 0
    .symbol:         _ZL39rocblas_check_numerics_ge_matrix_kernelILi16ELi16EPKfEviiT1_lllP24rocblas_check_numerics_s.kd
    .uniform_work_group_size: 1
    .uses_dynamic_stack: false
    .vgpr_count:     6
    .vgpr_spill_count: 0
    .wavefront_size: 32
  - .args:
      - .offset:         0
        .size:           1
        .value_kind:     by_value
      - .offset:         4
        .size:           4
        .value_kind:     by_value
      - .address_space:  global
        .offset:         8
        .size:           8
        .value_kind:     global_buffer
      - .offset:         16
        .size:           8
        .value_kind:     by_value
      - .offset:         24
        .size:           8
        .value_kind:     by_value
      - .offset:         32
        .size:           8
        .value_kind:     by_value
      - .address_space:  global
        .offset:         40
        .size:           8
        .value_kind:     global_buffer
      - .offset:         48
        .size:           4
        .value_kind:     hidden_block_count_x
      - .offset:         52
        .size:           4
        .value_kind:     hidden_block_count_y
      - .offset:         56
        .size:           4
        .value_kind:     hidden_block_count_z
      - .offset:         60
        .size:           2
        .value_kind:     hidden_group_size_x
      - .offset:         62
        .size:           2
        .value_kind:     hidden_group_size_y
      - .offset:         64
        .size:           2
        .value_kind:     hidden_group_size_z
      - .offset:         66
        .size:           2
        .value_kind:     hidden_remainder_x
      - .offset:         68
        .size:           2
        .value_kind:     hidden_remainder_y
      - .offset:         70
        .size:           2
        .value_kind:     hidden_remainder_z
      - .offset:         88
        .size:           8
        .value_kind:     hidden_global_offset_x
      - .offset:         96
        .size:           8
        .value_kind:     hidden_global_offset_y
      - .offset:         104
        .size:           8
        .value_kind:     hidden_global_offset_z
      - .offset:         112
        .size:           2
        .value_kind:     hidden_grid_dims
    .group_segment_fixed_size: 0
    .kernarg_segment_align: 8
    .kernarg_segment_size: 304
    .language:       OpenCL C
    .language_version:
      - 2
      - 0
    .max_flat_workgroup_size: 256
    .name:           _ZL49rocblas_check_numerics_sym_herm_tri_matrix_kernelILi16ELi16EPKfEvbiT1_lllP24rocblas_check_numerics_s
    .private_segment_fixed_size: 0
    .sgpr_count:     15
    .sgpr_spill_count: 0
    .symbol:         _ZL49rocblas_check_numerics_sym_herm_tri_matrix_kernelILi16ELi16EPKfEvbiT1_lllP24rocblas_check_numerics_s.kd
    .uniform_work_group_size: 1
    .uses_dynamic_stack: false
    .vgpr_count:     6
    .vgpr_spill_count: 0
    .wavefront_size: 32
  - .args:
      - .offset:         0
        .size:           4
        .value_kind:     by_value
      - .offset:         4
        .size:           4
        .value_kind:     by_value
      - .address_space:  global
        .offset:         8
        .size:           8
        .value_kind:     global_buffer
      - .offset:         16
        .size:           8
        .value_kind:     by_value
      - .offset:         24
        .size:           8
        .value_kind:     by_value
      - .offset:         32
        .size:           8
        .value_kind:     by_value
      - .address_space:  global
        .offset:         40
        .size:           8
        .value_kind:     global_buffer
      - .offset:         48
        .size:           4
        .value_kind:     hidden_block_count_x
      - .offset:         52
        .size:           4
        .value_kind:     hidden_block_count_y
      - .offset:         56
        .size:           4
        .value_kind:     hidden_block_count_z
      - .offset:         60
        .size:           2
        .value_kind:     hidden_group_size_x
      - .offset:         62
        .size:           2
        .value_kind:     hidden_group_size_y
      - .offset:         64
        .size:           2
        .value_kind:     hidden_group_size_z
      - .offset:         66
        .size:           2
        .value_kind:     hidden_remainder_x
      - .offset:         68
        .size:           2
        .value_kind:     hidden_remainder_y
      - .offset:         70
        .size:           2
        .value_kind:     hidden_remainder_z
      - .offset:         88
        .size:           8
        .value_kind:     hidden_global_offset_x
      - .offset:         96
        .size:           8
        .value_kind:     hidden_global_offset_y
      - .offset:         104
        .size:           8
        .value_kind:     hidden_global_offset_z
      - .offset:         112
        .size:           2
        .value_kind:     hidden_grid_dims
    .group_segment_fixed_size: 0
    .kernarg_segment_align: 8
    .kernarg_segment_size: 304
    .language:       OpenCL C
    .language_version:
      - 2
      - 0
    .max_flat_workgroup_size: 256
    .name:           _ZL39rocblas_check_numerics_ge_matrix_kernelILi16ELi16EPKPKfEviiT1_lllP24rocblas_check_numerics_s
    .private_segment_fixed_size: 0
    .sgpr_count:     13
    .sgpr_spill_count: 0
    .symbol:         _ZL39rocblas_check_numerics_ge_matrix_kernelILi16ELi16EPKPKfEviiT1_lllP24rocblas_check_numerics_s.kd
    .uniform_work_group_size: 1
    .uses_dynamic_stack: false
    .vgpr_count:     6
    .vgpr_spill_count: 0
    .wavefront_size: 32
  - .args:
      - .offset:         0
        .size:           1
        .value_kind:     by_value
      - .offset:         4
        .size:           4
        .value_kind:     by_value
      - .address_space:  global
        .offset:         8
        .size:           8
        .value_kind:     global_buffer
      - .offset:         16
        .size:           8
        .value_kind:     by_value
      - .offset:         24
        .size:           8
        .value_kind:     by_value
      - .offset:         32
        .size:           8
        .value_kind:     by_value
      - .address_space:  global
        .offset:         40
        .size:           8
        .value_kind:     global_buffer
      - .offset:         48
        .size:           4
        .value_kind:     hidden_block_count_x
      - .offset:         52
        .size:           4
        .value_kind:     hidden_block_count_y
      - .offset:         56
        .size:           4
        .value_kind:     hidden_block_count_z
      - .offset:         60
        .size:           2
        .value_kind:     hidden_group_size_x
      - .offset:         62
        .size:           2
        .value_kind:     hidden_group_size_y
      - .offset:         64
        .size:           2
        .value_kind:     hidden_group_size_z
      - .offset:         66
        .size:           2
        .value_kind:     hidden_remainder_x
      - .offset:         68
        .size:           2
        .value_kind:     hidden_remainder_y
      - .offset:         70
        .size:           2
        .value_kind:     hidden_remainder_z
      - .offset:         88
        .size:           8
        .value_kind:     hidden_global_offset_x
      - .offset:         96
        .size:           8
        .value_kind:     hidden_global_offset_y
      - .offset:         104
        .size:           8
        .value_kind:     hidden_global_offset_z
      - .offset:         112
        .size:           2
        .value_kind:     hidden_grid_dims
    .group_segment_fixed_size: 0
    .kernarg_segment_align: 8
    .kernarg_segment_size: 304
    .language:       OpenCL C
    .language_version:
      - 2
      - 0
    .max_flat_workgroup_size: 256
    .name:           _ZL49rocblas_check_numerics_sym_herm_tri_matrix_kernelILi16ELi16EPKPKfEvbiT1_lllP24rocblas_check_numerics_s
    .private_segment_fixed_size: 0
    .sgpr_count:     14
    .sgpr_spill_count: 0
    .symbol:         _ZL49rocblas_check_numerics_sym_herm_tri_matrix_kernelILi16ELi16EPKPKfEvbiT1_lllP24rocblas_check_numerics_s.kd
    .uniform_work_group_size: 1
    .uses_dynamic_stack: false
    .vgpr_count:     6
    .vgpr_spill_count: 0
    .wavefront_size: 32
  - .args:
      - .offset:         0
        .size:           4
        .value_kind:     by_value
      - .offset:         4
        .size:           4
        .value_kind:     by_value
      - .address_space:  global
        .offset:         8
        .size:           8
        .value_kind:     global_buffer
      - .offset:         16
        .size:           8
        .value_kind:     by_value
      - .offset:         24
        .size:           8
        .value_kind:     by_value
      - .offset:         32
        .size:           8
        .value_kind:     by_value
      - .address_space:  global
        .offset:         40
        .size:           8
        .value_kind:     global_buffer
      - .offset:         48
        .size:           4
        .value_kind:     hidden_block_count_x
      - .offset:         52
        .size:           4
        .value_kind:     hidden_block_count_y
      - .offset:         56
        .size:           4
        .value_kind:     hidden_block_count_z
      - .offset:         60
        .size:           2
        .value_kind:     hidden_group_size_x
      - .offset:         62
        .size:           2
        .value_kind:     hidden_group_size_y
      - .offset:         64
        .size:           2
        .value_kind:     hidden_group_size_z
      - .offset:         66
        .size:           2
        .value_kind:     hidden_remainder_x
      - .offset:         68
        .size:           2
        .value_kind:     hidden_remainder_y
      - .offset:         70
        .size:           2
        .value_kind:     hidden_remainder_z
      - .offset:         88
        .size:           8
        .value_kind:     hidden_global_offset_x
      - .offset:         96
        .size:           8
        .value_kind:     hidden_global_offset_y
      - .offset:         104
        .size:           8
        .value_kind:     hidden_global_offset_z
      - .offset:         112
        .size:           2
        .value_kind:     hidden_grid_dims
    .group_segment_fixed_size: 0
    .kernarg_segment_align: 8
    .kernarg_segment_size: 304
    .language:       OpenCL C
    .language_version:
      - 2
      - 0
    .max_flat_workgroup_size: 256
    .name:           _ZL39rocblas_check_numerics_ge_matrix_kernelILi16ELi16EPdEviiT1_lllP24rocblas_check_numerics_s
    .private_segment_fixed_size: 0
    .sgpr_count:     18
    .sgpr_spill_count: 0
    .symbol:         _ZL39rocblas_check_numerics_ge_matrix_kernelILi16ELi16EPdEviiT1_lllP24rocblas_check_numerics_s.kd
    .uniform_work_group_size: 1
    .uses_dynamic_stack: false
    .vgpr_count:     4
    .vgpr_spill_count: 0
    .wavefront_size: 32
  - .args:
      - .offset:         0
        .size:           1
        .value_kind:     by_value
      - .offset:         4
        .size:           4
        .value_kind:     by_value
      - .address_space:  global
        .offset:         8
        .size:           8
        .value_kind:     global_buffer
      - .offset:         16
        .size:           8
        .value_kind:     by_value
      - .offset:         24
        .size:           8
        .value_kind:     by_value
      - .offset:         32
        .size:           8
        .value_kind:     by_value
      - .address_space:  global
        .offset:         40
        .size:           8
        .value_kind:     global_buffer
      - .offset:         48
        .size:           4
        .value_kind:     hidden_block_count_x
      - .offset:         52
        .size:           4
        .value_kind:     hidden_block_count_y
      - .offset:         56
        .size:           4
        .value_kind:     hidden_block_count_z
      - .offset:         60
        .size:           2
        .value_kind:     hidden_group_size_x
      - .offset:         62
        .size:           2
        .value_kind:     hidden_group_size_y
      - .offset:         64
        .size:           2
        .value_kind:     hidden_group_size_z
      - .offset:         66
        .size:           2
        .value_kind:     hidden_remainder_x
      - .offset:         68
        .size:           2
        .value_kind:     hidden_remainder_y
      - .offset:         70
        .size:           2
        .value_kind:     hidden_remainder_z
      - .offset:         88
        .size:           8
        .value_kind:     hidden_global_offset_x
      - .offset:         96
        .size:           8
        .value_kind:     hidden_global_offset_y
      - .offset:         104
        .size:           8
        .value_kind:     hidden_global_offset_z
      - .offset:         112
        .size:           2
        .value_kind:     hidden_grid_dims
    .group_segment_fixed_size: 0
    .kernarg_segment_align: 8
    .kernarg_segment_size: 304
    .language:       OpenCL C
    .language_version:
      - 2
      - 0
    .max_flat_workgroup_size: 256
    .name:           _ZL49rocblas_check_numerics_sym_herm_tri_matrix_kernelILi16ELi16EPdEvbiT1_lllP24rocblas_check_numerics_s
    .private_segment_fixed_size: 0
    .sgpr_count:     15
    .sgpr_spill_count: 0
    .symbol:         _ZL49rocblas_check_numerics_sym_herm_tri_matrix_kernelILi16ELi16EPdEvbiT1_lllP24rocblas_check_numerics_s.kd
    .uniform_work_group_size: 1
    .uses_dynamic_stack: false
    .vgpr_count:     4
    .vgpr_spill_count: 0
    .wavefront_size: 32
  - .args:
      - .offset:         0
        .size:           4
        .value_kind:     by_value
      - .offset:         4
        .size:           4
        .value_kind:     by_value
      - .address_space:  global
        .offset:         8
        .size:           8
        .value_kind:     global_buffer
      - .offset:         16
        .size:           8
        .value_kind:     by_value
      - .offset:         24
        .size:           8
        .value_kind:     by_value
      - .offset:         32
        .size:           8
        .value_kind:     by_value
      - .address_space:  global
        .offset:         40
        .size:           8
        .value_kind:     global_buffer
      - .offset:         48
        .size:           4
        .value_kind:     hidden_block_count_x
      - .offset:         52
        .size:           4
        .value_kind:     hidden_block_count_y
      - .offset:         56
        .size:           4
        .value_kind:     hidden_block_count_z
      - .offset:         60
        .size:           2
        .value_kind:     hidden_group_size_x
      - .offset:         62
        .size:           2
        .value_kind:     hidden_group_size_y
      - .offset:         64
        .size:           2
        .value_kind:     hidden_group_size_z
      - .offset:         66
        .size:           2
        .value_kind:     hidden_remainder_x
      - .offset:         68
        .size:           2
        .value_kind:     hidden_remainder_y
      - .offset:         70
        .size:           2
        .value_kind:     hidden_remainder_z
      - .offset:         88
        .size:           8
        .value_kind:     hidden_global_offset_x
      - .offset:         96
        .size:           8
        .value_kind:     hidden_global_offset_y
      - .offset:         104
        .size:           8
        .value_kind:     hidden_global_offset_z
      - .offset:         112
        .size:           2
        .value_kind:     hidden_grid_dims
    .group_segment_fixed_size: 0
    .kernarg_segment_align: 8
    .kernarg_segment_size: 304
    .language:       OpenCL C
    .language_version:
      - 2
      - 0
    .max_flat_workgroup_size: 256
    .name:           _ZL39rocblas_check_numerics_ge_matrix_kernelILi16ELi16EPKdEviiT1_lllP24rocblas_check_numerics_s
    .private_segment_fixed_size: 0
    .sgpr_count:     18
    .sgpr_spill_count: 0
    .symbol:         _ZL39rocblas_check_numerics_ge_matrix_kernelILi16ELi16EPKdEviiT1_lllP24rocblas_check_numerics_s.kd
    .uniform_work_group_size: 1
    .uses_dynamic_stack: false
    .vgpr_count:     4
    .vgpr_spill_count: 0
    .wavefront_size: 32
  - .args:
      - .offset:         0
        .size:           1
        .value_kind:     by_value
      - .offset:         4
        .size:           4
        .value_kind:     by_value
      - .address_space:  global
        .offset:         8
        .size:           8
        .value_kind:     global_buffer
      - .offset:         16
        .size:           8
        .value_kind:     by_value
      - .offset:         24
        .size:           8
        .value_kind:     by_value
      - .offset:         32
        .size:           8
        .value_kind:     by_value
      - .address_space:  global
        .offset:         40
        .size:           8
        .value_kind:     global_buffer
      - .offset:         48
        .size:           4
        .value_kind:     hidden_block_count_x
      - .offset:         52
        .size:           4
        .value_kind:     hidden_block_count_y
      - .offset:         56
        .size:           4
        .value_kind:     hidden_block_count_z
      - .offset:         60
        .size:           2
        .value_kind:     hidden_group_size_x
      - .offset:         62
        .size:           2
        .value_kind:     hidden_group_size_y
      - .offset:         64
        .size:           2
        .value_kind:     hidden_group_size_z
      - .offset:         66
        .size:           2
        .value_kind:     hidden_remainder_x
      - .offset:         68
        .size:           2
        .value_kind:     hidden_remainder_y
      - .offset:         70
        .size:           2
        .value_kind:     hidden_remainder_z
      - .offset:         88
        .size:           8
        .value_kind:     hidden_global_offset_x
      - .offset:         96
        .size:           8
        .value_kind:     hidden_global_offset_y
      - .offset:         104
        .size:           8
        .value_kind:     hidden_global_offset_z
      - .offset:         112
        .size:           2
        .value_kind:     hidden_grid_dims
    .group_segment_fixed_size: 0
    .kernarg_segment_align: 8
    .kernarg_segment_size: 304
    .language:       OpenCL C
    .language_version:
      - 2
      - 0
    .max_flat_workgroup_size: 256
    .name:           _ZL49rocblas_check_numerics_sym_herm_tri_matrix_kernelILi16ELi16EPKdEvbiT1_lllP24rocblas_check_numerics_s
    .private_segment_fixed_size: 0
    .sgpr_count:     15
    .sgpr_spill_count: 0
    .symbol:         _ZL49rocblas_check_numerics_sym_herm_tri_matrix_kernelILi16ELi16EPKdEvbiT1_lllP24rocblas_check_numerics_s.kd
    .uniform_work_group_size: 1
    .uses_dynamic_stack: false
    .vgpr_count:     4
    .vgpr_spill_count: 0
    .wavefront_size: 32
  - .args:
      - .offset:         0
        .size:           4
        .value_kind:     by_value
      - .offset:         4
        .size:           4
        .value_kind:     by_value
      - .address_space:  global
        .offset:         8
        .size:           8
        .value_kind:     global_buffer
      - .offset:         16
        .size:           8
        .value_kind:     by_value
      - .offset:         24
        .size:           8
        .value_kind:     by_value
      - .offset:         32
        .size:           8
        .value_kind:     by_value
      - .address_space:  global
        .offset:         40
        .size:           8
        .value_kind:     global_buffer
      - .offset:         48
        .size:           4
        .value_kind:     hidden_block_count_x
      - .offset:         52
        .size:           4
        .value_kind:     hidden_block_count_y
      - .offset:         56
        .size:           4
        .value_kind:     hidden_block_count_z
      - .offset:         60
        .size:           2
        .value_kind:     hidden_group_size_x
      - .offset:         62
        .size:           2
        .value_kind:     hidden_group_size_y
      - .offset:         64
        .size:           2
        .value_kind:     hidden_group_size_z
      - .offset:         66
        .size:           2
        .value_kind:     hidden_remainder_x
      - .offset:         68
        .size:           2
        .value_kind:     hidden_remainder_y
      - .offset:         70
        .size:           2
        .value_kind:     hidden_remainder_z
      - .offset:         88
        .size:           8
        .value_kind:     hidden_global_offset_x
      - .offset:         96
        .size:           8
        .value_kind:     hidden_global_offset_y
      - .offset:         104
        .size:           8
        .value_kind:     hidden_global_offset_z
      - .offset:         112
        .size:           2
        .value_kind:     hidden_grid_dims
    .group_segment_fixed_size: 0
    .kernarg_segment_align: 8
    .kernarg_segment_size: 304
    .language:       OpenCL C
    .language_version:
      - 2
      - 0
    .max_flat_workgroup_size: 256
    .name:           _ZL39rocblas_check_numerics_ge_matrix_kernelILi16ELi16EPKPdEviiT1_lllP24rocblas_check_numerics_s
    .private_segment_fixed_size: 0
    .sgpr_count:     13
    .sgpr_spill_count: 0
    .symbol:         _ZL39rocblas_check_numerics_ge_matrix_kernelILi16ELi16EPKPdEviiT1_lllP24rocblas_check_numerics_s.kd
    .uniform_work_group_size: 1
    .uses_dynamic_stack: false
    .vgpr_count:     4
    .vgpr_spill_count: 0
    .wavefront_size: 32
  - .args:
      - .offset:         0
        .size:           1
        .value_kind:     by_value
      - .offset:         4
        .size:           4
        .value_kind:     by_value
      - .address_space:  global
        .offset:         8
        .size:           8
        .value_kind:     global_buffer
      - .offset:         16
        .size:           8
        .value_kind:     by_value
      - .offset:         24
        .size:           8
        .value_kind:     by_value
      - .offset:         32
        .size:           8
        .value_kind:     by_value
      - .address_space:  global
        .offset:         40
        .size:           8
        .value_kind:     global_buffer
      - .offset:         48
        .size:           4
        .value_kind:     hidden_block_count_x
      - .offset:         52
        .size:           4
        .value_kind:     hidden_block_count_y
      - .offset:         56
        .size:           4
        .value_kind:     hidden_block_count_z
      - .offset:         60
        .size:           2
        .value_kind:     hidden_group_size_x
      - .offset:         62
        .size:           2
        .value_kind:     hidden_group_size_y
      - .offset:         64
        .size:           2
        .value_kind:     hidden_group_size_z
      - .offset:         66
        .size:           2
        .value_kind:     hidden_remainder_x
      - .offset:         68
        .size:           2
        .value_kind:     hidden_remainder_y
      - .offset:         70
        .size:           2
        .value_kind:     hidden_remainder_z
      - .offset:         88
        .size:           8
        .value_kind:     hidden_global_offset_x
      - .offset:         96
        .size:           8
        .value_kind:     hidden_global_offset_y
      - .offset:         104
        .size:           8
        .value_kind:     hidden_global_offset_z
      - .offset:         112
        .size:           2
        .value_kind:     hidden_grid_dims
    .group_segment_fixed_size: 0
    .kernarg_segment_align: 8
    .kernarg_segment_size: 304
    .language:       OpenCL C
    .language_version:
      - 2
      - 0
    .max_flat_workgroup_size: 256
    .name:           _ZL49rocblas_check_numerics_sym_herm_tri_matrix_kernelILi16ELi16EPKPdEvbiT1_lllP24rocblas_check_numerics_s
    .private_segment_fixed_size: 0
    .sgpr_count:     14
    .sgpr_spill_count: 0
    .symbol:         _ZL49rocblas_check_numerics_sym_herm_tri_matrix_kernelILi16ELi16EPKPdEvbiT1_lllP24rocblas_check_numerics_s.kd
    .uniform_work_group_size: 1
    .uses_dynamic_stack: false
    .vgpr_count:     4
    .vgpr_spill_count: 0
    .wavefront_size: 32
  - .args:
      - .offset:         0
        .size:           4
        .value_kind:     by_value
      - .offset:         4
        .size:           4
        .value_kind:     by_value
      - .address_space:  global
        .offset:         8
        .size:           8
        .value_kind:     global_buffer
      - .offset:         16
        .size:           8
        .value_kind:     by_value
      - .offset:         24
        .size:           8
        .value_kind:     by_value
      - .offset:         32
        .size:           8
        .value_kind:     by_value
      - .address_space:  global
        .offset:         40
        .size:           8
        .value_kind:     global_buffer
      - .offset:         48
        .size:           4
        .value_kind:     hidden_block_count_x
      - .offset:         52
        .size:           4
        .value_kind:     hidden_block_count_y
      - .offset:         56
        .size:           4
        .value_kind:     hidden_block_count_z
      - .offset:         60
        .size:           2
        .value_kind:     hidden_group_size_x
      - .offset:         62
        .size:           2
        .value_kind:     hidden_group_size_y
      - .offset:         64
        .size:           2
        .value_kind:     hidden_group_size_z
      - .offset:         66
        .size:           2
        .value_kind:     hidden_remainder_x
      - .offset:         68
        .size:           2
        .value_kind:     hidden_remainder_y
      - .offset:         70
        .size:           2
        .value_kind:     hidden_remainder_z
      - .offset:         88
        .size:           8
        .value_kind:     hidden_global_offset_x
      - .offset:         96
        .size:           8
        .value_kind:     hidden_global_offset_y
      - .offset:         104
        .size:           8
        .value_kind:     hidden_global_offset_z
      - .offset:         112
        .size:           2
        .value_kind:     hidden_grid_dims
    .group_segment_fixed_size: 0
    .kernarg_segment_align: 8
    .kernarg_segment_size: 304
    .language:       OpenCL C
    .language_version:
      - 2
      - 0
    .max_flat_workgroup_size: 256
    .name:           _ZL39rocblas_check_numerics_ge_matrix_kernelILi16ELi16EPKPKdEviiT1_lllP24rocblas_check_numerics_s
    .private_segment_fixed_size: 0
    .sgpr_count:     13
    .sgpr_spill_count: 0
    .symbol:         _ZL39rocblas_check_numerics_ge_matrix_kernelILi16ELi16EPKPKdEviiT1_lllP24rocblas_check_numerics_s.kd
    .uniform_work_group_size: 1
    .uses_dynamic_stack: false
    .vgpr_count:     4
    .vgpr_spill_count: 0
    .wavefront_size: 32
  - .args:
      - .offset:         0
        .size:           1
        .value_kind:     by_value
      - .offset:         4
        .size:           4
        .value_kind:     by_value
      - .address_space:  global
        .offset:         8
        .size:           8
        .value_kind:     global_buffer
      - .offset:         16
        .size:           8
        .value_kind:     by_value
      - .offset:         24
        .size:           8
        .value_kind:     by_value
      - .offset:         32
        .size:           8
        .value_kind:     by_value
      - .address_space:  global
        .offset:         40
        .size:           8
        .value_kind:     global_buffer
      - .offset:         48
        .size:           4
        .value_kind:     hidden_block_count_x
      - .offset:         52
        .size:           4
        .value_kind:     hidden_block_count_y
      - .offset:         56
        .size:           4
        .value_kind:     hidden_block_count_z
      - .offset:         60
        .size:           2
        .value_kind:     hidden_group_size_x
      - .offset:         62
        .size:           2
        .value_kind:     hidden_group_size_y
      - .offset:         64
        .size:           2
        .value_kind:     hidden_group_size_z
      - .offset:         66
        .size:           2
        .value_kind:     hidden_remainder_x
      - .offset:         68
        .size:           2
        .value_kind:     hidden_remainder_y
      - .offset:         70
        .size:           2
        .value_kind:     hidden_remainder_z
      - .offset:         88
        .size:           8
        .value_kind:     hidden_global_offset_x
      - .offset:         96
        .size:           8
        .value_kind:     hidden_global_offset_y
      - .offset:         104
        .size:           8
        .value_kind:     hidden_global_offset_z
      - .offset:         112
        .size:           2
        .value_kind:     hidden_grid_dims
    .group_segment_fixed_size: 0
    .kernarg_segment_align: 8
    .kernarg_segment_size: 304
    .language:       OpenCL C
    .language_version:
      - 2
      - 0
    .max_flat_workgroup_size: 256
    .name:           _ZL49rocblas_check_numerics_sym_herm_tri_matrix_kernelILi16ELi16EPKPKdEvbiT1_lllP24rocblas_check_numerics_s
    .private_segment_fixed_size: 0
    .sgpr_count:     14
    .sgpr_spill_count: 0
    .symbol:         _ZL49rocblas_check_numerics_sym_herm_tri_matrix_kernelILi16ELi16EPKPKdEvbiT1_lllP24rocblas_check_numerics_s.kd
    .uniform_work_group_size: 1
    .uses_dynamic_stack: false
    .vgpr_count:     4
    .vgpr_spill_count: 0
    .wavefront_size: 32
  - .args:
      - .offset:         0
        .size:           4
        .value_kind:     by_value
      - .offset:         4
        .size:           4
        .value_kind:     by_value
      - .address_space:  global
        .offset:         8
        .size:           8
        .value_kind:     global_buffer
      - .offset:         16
        .size:           8
        .value_kind:     by_value
      - .offset:         24
        .size:           8
        .value_kind:     by_value
      - .offset:         32
        .size:           8
        .value_kind:     by_value
      - .address_space:  global
        .offset:         40
        .size:           8
        .value_kind:     global_buffer
      - .offset:         48
        .size:           4
        .value_kind:     hidden_block_count_x
      - .offset:         52
        .size:           4
        .value_kind:     hidden_block_count_y
      - .offset:         56
        .size:           4
        .value_kind:     hidden_block_count_z
      - .offset:         60
        .size:           2
        .value_kind:     hidden_group_size_x
      - .offset:         62
        .size:           2
        .value_kind:     hidden_group_size_y
      - .offset:         64
        .size:           2
        .value_kind:     hidden_group_size_z
      - .offset:         66
        .size:           2
        .value_kind:     hidden_remainder_x
      - .offset:         68
        .size:           2
        .value_kind:     hidden_remainder_y
      - .offset:         70
        .size:           2
        .value_kind:     hidden_remainder_z
      - .offset:         88
        .size:           8
        .value_kind:     hidden_global_offset_x
      - .offset:         96
        .size:           8
        .value_kind:     hidden_global_offset_y
      - .offset:         104
        .size:           8
        .value_kind:     hidden_global_offset_z
      - .offset:         112
        .size:           2
        .value_kind:     hidden_grid_dims
    .group_segment_fixed_size: 0
    .kernarg_segment_align: 8
    .kernarg_segment_size: 304
    .language:       OpenCL C
    .language_version:
      - 2
      - 0
    .max_flat_workgroup_size: 256
    .name:           _ZL39rocblas_check_numerics_ge_matrix_kernelILi16ELi16EP19rocblas_complex_numIfEEviiT1_lllP24rocblas_check_numerics_s
    .private_segment_fixed_size: 0
    .sgpr_count:     15
    .sgpr_spill_count: 0
    .symbol:         _ZL39rocblas_check_numerics_ge_matrix_kernelILi16ELi16EP19rocblas_complex_numIfEEviiT1_lllP24rocblas_check_numerics_s.kd
    .uniform_work_group_size: 1
    .uses_dynamic_stack: false
    .vgpr_count:     6
    .vgpr_spill_count: 0
    .wavefront_size: 32
  - .args:
      - .offset:         0
        .size:           1
        .value_kind:     by_value
      - .offset:         4
        .size:           4
        .value_kind:     by_value
      - .address_space:  global
        .offset:         8
        .size:           8
        .value_kind:     global_buffer
      - .offset:         16
        .size:           8
        .value_kind:     by_value
      - .offset:         24
        .size:           8
        .value_kind:     by_value
      - .offset:         32
        .size:           8
        .value_kind:     by_value
      - .address_space:  global
        .offset:         40
        .size:           8
        .value_kind:     global_buffer
      - .offset:         48
        .size:           4
        .value_kind:     hidden_block_count_x
      - .offset:         52
        .size:           4
        .value_kind:     hidden_block_count_y
      - .offset:         56
        .size:           4
        .value_kind:     hidden_block_count_z
      - .offset:         60
        .size:           2
        .value_kind:     hidden_group_size_x
      - .offset:         62
        .size:           2
        .value_kind:     hidden_group_size_y
      - .offset:         64
        .size:           2
        .value_kind:     hidden_group_size_z
      - .offset:         66
        .size:           2
        .value_kind:     hidden_remainder_x
      - .offset:         68
        .size:           2
        .value_kind:     hidden_remainder_y
      - .offset:         70
        .size:           2
        .value_kind:     hidden_remainder_z
      - .offset:         88
        .size:           8
        .value_kind:     hidden_global_offset_x
      - .offset:         96
        .size:           8
        .value_kind:     hidden_global_offset_y
      - .offset:         104
        .size:           8
        .value_kind:     hidden_global_offset_z
      - .offset:         112
        .size:           2
        .value_kind:     hidden_grid_dims
    .group_segment_fixed_size: 0
    .kernarg_segment_align: 8
    .kernarg_segment_size: 304
    .language:       OpenCL C
    .language_version:
      - 2
      - 0
    .max_flat_workgroup_size: 256
    .name:           _ZL49rocblas_check_numerics_sym_herm_tri_matrix_kernelILi16ELi16EP19rocblas_complex_numIfEEvbiT1_lllP24rocblas_check_numerics_s
    .private_segment_fixed_size: 0
    .sgpr_count:     15
    .sgpr_spill_count: 0
    .symbol:         _ZL49rocblas_check_numerics_sym_herm_tri_matrix_kernelILi16ELi16EP19rocblas_complex_numIfEEvbiT1_lllP24rocblas_check_numerics_s.kd
    .uniform_work_group_size: 1
    .uses_dynamic_stack: false
    .vgpr_count:     6
    .vgpr_spill_count: 0
    .wavefront_size: 32
  - .args:
      - .offset:         0
        .size:           4
        .value_kind:     by_value
      - .offset:         4
        .size:           4
        .value_kind:     by_value
      - .address_space:  global
        .offset:         8
        .size:           8
        .value_kind:     global_buffer
      - .offset:         16
        .size:           8
        .value_kind:     by_value
      - .offset:         24
        .size:           8
        .value_kind:     by_value
      - .offset:         32
        .size:           8
        .value_kind:     by_value
      - .address_space:  global
        .offset:         40
        .size:           8
        .value_kind:     global_buffer
      - .offset:         48
        .size:           4
        .value_kind:     hidden_block_count_x
      - .offset:         52
        .size:           4
        .value_kind:     hidden_block_count_y
      - .offset:         56
        .size:           4
        .value_kind:     hidden_block_count_z
      - .offset:         60
        .size:           2
        .value_kind:     hidden_group_size_x
      - .offset:         62
        .size:           2
        .value_kind:     hidden_group_size_y
      - .offset:         64
        .size:           2
        .value_kind:     hidden_group_size_z
      - .offset:         66
        .size:           2
        .value_kind:     hidden_remainder_x
      - .offset:         68
        .size:           2
        .value_kind:     hidden_remainder_y
      - .offset:         70
        .size:           2
        .value_kind:     hidden_remainder_z
      - .offset:         88
        .size:           8
        .value_kind:     hidden_global_offset_x
      - .offset:         96
        .size:           8
        .value_kind:     hidden_global_offset_y
      - .offset:         104
        .size:           8
        .value_kind:     hidden_global_offset_z
      - .offset:         112
        .size:           2
        .value_kind:     hidden_grid_dims
    .group_segment_fixed_size: 0
    .kernarg_segment_align: 8
    .kernarg_segment_size: 304
    .language:       OpenCL C
    .language_version:
      - 2
      - 0
    .max_flat_workgroup_size: 256
    .name:           _ZL39rocblas_check_numerics_ge_matrix_kernelILi16ELi16EPKP19rocblas_complex_numIfEEviiT1_lllP24rocblas_check_numerics_s
    .private_segment_fixed_size: 0
    .sgpr_count:     14
    .sgpr_spill_count: 0
    .symbol:         _ZL39rocblas_check_numerics_ge_matrix_kernelILi16ELi16EPKP19rocblas_complex_numIfEEviiT1_lllP24rocblas_check_numerics_s.kd
    .uniform_work_group_size: 1
    .uses_dynamic_stack: false
    .vgpr_count:     6
    .vgpr_spill_count: 0
    .wavefront_size: 32
  - .args:
      - .offset:         0
        .size:           1
        .value_kind:     by_value
      - .offset:         4
        .size:           4
        .value_kind:     by_value
      - .address_space:  global
        .offset:         8
        .size:           8
        .value_kind:     global_buffer
      - .offset:         16
        .size:           8
        .value_kind:     by_value
      - .offset:         24
        .size:           8
        .value_kind:     by_value
      - .offset:         32
        .size:           8
        .value_kind:     by_value
      - .address_space:  global
        .offset:         40
        .size:           8
        .value_kind:     global_buffer
      - .offset:         48
        .size:           4
        .value_kind:     hidden_block_count_x
      - .offset:         52
        .size:           4
        .value_kind:     hidden_block_count_y
      - .offset:         56
        .size:           4
        .value_kind:     hidden_block_count_z
      - .offset:         60
        .size:           2
        .value_kind:     hidden_group_size_x
      - .offset:         62
        .size:           2
        .value_kind:     hidden_group_size_y
      - .offset:         64
        .size:           2
        .value_kind:     hidden_group_size_z
      - .offset:         66
        .size:           2
        .value_kind:     hidden_remainder_x
      - .offset:         68
        .size:           2
        .value_kind:     hidden_remainder_y
      - .offset:         70
        .size:           2
        .value_kind:     hidden_remainder_z
      - .offset:         88
        .size:           8
        .value_kind:     hidden_global_offset_x
      - .offset:         96
        .size:           8
        .value_kind:     hidden_global_offset_y
      - .offset:         104
        .size:           8
        .value_kind:     hidden_global_offset_z
      - .offset:         112
        .size:           2
        .value_kind:     hidden_grid_dims
    .group_segment_fixed_size: 0
    .kernarg_segment_align: 8
    .kernarg_segment_size: 304
    .language:       OpenCL C
    .language_version:
      - 2
      - 0
    .max_flat_workgroup_size: 256
    .name:           _ZL49rocblas_check_numerics_sym_herm_tri_matrix_kernelILi16ELi16EPKP19rocblas_complex_numIfEEvbiT1_lllP24rocblas_check_numerics_s
    .private_segment_fixed_size: 0
    .sgpr_count:     14
    .sgpr_spill_count: 0
    .symbol:         _ZL49rocblas_check_numerics_sym_herm_tri_matrix_kernelILi16ELi16EPKP19rocblas_complex_numIfEEvbiT1_lllP24rocblas_check_numerics_s.kd
    .uniform_work_group_size: 1
    .uses_dynamic_stack: false
    .vgpr_count:     6
    .vgpr_spill_count: 0
    .wavefront_size: 32
  - .args:
      - .offset:         0
        .size:           4
        .value_kind:     by_value
      - .offset:         4
        .size:           4
        .value_kind:     by_value
      - .address_space:  global
        .offset:         8
        .size:           8
        .value_kind:     global_buffer
      - .offset:         16
        .size:           8
        .value_kind:     by_value
      - .offset:         24
        .size:           8
        .value_kind:     by_value
      - .offset:         32
        .size:           8
        .value_kind:     by_value
      - .address_space:  global
        .offset:         40
        .size:           8
        .value_kind:     global_buffer
      - .offset:         48
        .size:           4
        .value_kind:     hidden_block_count_x
      - .offset:         52
        .size:           4
        .value_kind:     hidden_block_count_y
      - .offset:         56
        .size:           4
        .value_kind:     hidden_block_count_z
      - .offset:         60
        .size:           2
        .value_kind:     hidden_group_size_x
      - .offset:         62
        .size:           2
        .value_kind:     hidden_group_size_y
      - .offset:         64
        .size:           2
        .value_kind:     hidden_group_size_z
      - .offset:         66
        .size:           2
        .value_kind:     hidden_remainder_x
      - .offset:         68
        .size:           2
        .value_kind:     hidden_remainder_y
      - .offset:         70
        .size:           2
        .value_kind:     hidden_remainder_z
      - .offset:         88
        .size:           8
        .value_kind:     hidden_global_offset_x
      - .offset:         96
        .size:           8
        .value_kind:     hidden_global_offset_y
      - .offset:         104
        .size:           8
        .value_kind:     hidden_global_offset_z
      - .offset:         112
        .size:           2
        .value_kind:     hidden_grid_dims
    .group_segment_fixed_size: 0
    .kernarg_segment_align: 8
    .kernarg_segment_size: 304
    .language:       OpenCL C
    .language_version:
      - 2
      - 0
    .max_flat_workgroup_size: 256
    .name:           _ZL39rocblas_check_numerics_ge_matrix_kernelILi16ELi16EPK19rocblas_complex_numIfEEviiT1_lllP24rocblas_check_numerics_s
    .private_segment_fixed_size: 0
    .sgpr_count:     15
    .sgpr_spill_count: 0
    .symbol:         _ZL39rocblas_check_numerics_ge_matrix_kernelILi16ELi16EPK19rocblas_complex_numIfEEviiT1_lllP24rocblas_check_numerics_s.kd
    .uniform_work_group_size: 1
    .uses_dynamic_stack: false
    .vgpr_count:     6
    .vgpr_spill_count: 0
    .wavefront_size: 32
  - .args:
      - .offset:         0
        .size:           1
        .value_kind:     by_value
      - .offset:         4
        .size:           4
        .value_kind:     by_value
      - .address_space:  global
        .offset:         8
        .size:           8
        .value_kind:     global_buffer
      - .offset:         16
        .size:           8
        .value_kind:     by_value
      - .offset:         24
        .size:           8
        .value_kind:     by_value
      - .offset:         32
        .size:           8
        .value_kind:     by_value
      - .address_space:  global
        .offset:         40
        .size:           8
        .value_kind:     global_buffer
      - .offset:         48
        .size:           4
        .value_kind:     hidden_block_count_x
      - .offset:         52
        .size:           4
        .value_kind:     hidden_block_count_y
      - .offset:         56
        .size:           4
        .value_kind:     hidden_block_count_z
      - .offset:         60
        .size:           2
        .value_kind:     hidden_group_size_x
      - .offset:         62
        .size:           2
        .value_kind:     hidden_group_size_y
      - .offset:         64
        .size:           2
        .value_kind:     hidden_group_size_z
      - .offset:         66
        .size:           2
        .value_kind:     hidden_remainder_x
      - .offset:         68
        .size:           2
        .value_kind:     hidden_remainder_y
      - .offset:         70
        .size:           2
        .value_kind:     hidden_remainder_z
      - .offset:         88
        .size:           8
        .value_kind:     hidden_global_offset_x
      - .offset:         96
        .size:           8
        .value_kind:     hidden_global_offset_y
      - .offset:         104
        .size:           8
        .value_kind:     hidden_global_offset_z
      - .offset:         112
        .size:           2
        .value_kind:     hidden_grid_dims
    .group_segment_fixed_size: 0
    .kernarg_segment_align: 8
    .kernarg_segment_size: 304
    .language:       OpenCL C
    .language_version:
      - 2
      - 0
    .max_flat_workgroup_size: 256
    .name:           _ZL49rocblas_check_numerics_sym_herm_tri_matrix_kernelILi16ELi16EPK19rocblas_complex_numIfEEvbiT1_lllP24rocblas_check_numerics_s
    .private_segment_fixed_size: 0
    .sgpr_count:     15
    .sgpr_spill_count: 0
    .symbol:         _ZL49rocblas_check_numerics_sym_herm_tri_matrix_kernelILi16ELi16EPK19rocblas_complex_numIfEEvbiT1_lllP24rocblas_check_numerics_s.kd
    .uniform_work_group_size: 1
    .uses_dynamic_stack: false
    .vgpr_count:     6
    .vgpr_spill_count: 0
    .wavefront_size: 32
  - .args:
      - .offset:         0
        .size:           4
        .value_kind:     by_value
      - .offset:         4
        .size:           4
        .value_kind:     by_value
      - .address_space:  global
        .offset:         8
        .size:           8
        .value_kind:     global_buffer
      - .offset:         16
        .size:           8
        .value_kind:     by_value
      - .offset:         24
        .size:           8
        .value_kind:     by_value
      - .offset:         32
        .size:           8
        .value_kind:     by_value
      - .address_space:  global
        .offset:         40
        .size:           8
        .value_kind:     global_buffer
      - .offset:         48
        .size:           4
        .value_kind:     hidden_block_count_x
      - .offset:         52
        .size:           4
        .value_kind:     hidden_block_count_y
      - .offset:         56
        .size:           4
        .value_kind:     hidden_block_count_z
      - .offset:         60
        .size:           2
        .value_kind:     hidden_group_size_x
      - .offset:         62
        .size:           2
        .value_kind:     hidden_group_size_y
      - .offset:         64
        .size:           2
        .value_kind:     hidden_group_size_z
      - .offset:         66
        .size:           2
        .value_kind:     hidden_remainder_x
      - .offset:         68
        .size:           2
        .value_kind:     hidden_remainder_y
      - .offset:         70
        .size:           2
        .value_kind:     hidden_remainder_z
      - .offset:         88
        .size:           8
        .value_kind:     hidden_global_offset_x
      - .offset:         96
        .size:           8
        .value_kind:     hidden_global_offset_y
      - .offset:         104
        .size:           8
        .value_kind:     hidden_global_offset_z
      - .offset:         112
        .size:           2
        .value_kind:     hidden_grid_dims
    .group_segment_fixed_size: 0
    .kernarg_segment_align: 8
    .kernarg_segment_size: 304
    .language:       OpenCL C
    .language_version:
      - 2
      - 0
    .max_flat_workgroup_size: 256
    .name:           _ZL39rocblas_check_numerics_ge_matrix_kernelILi16ELi16EPKPK19rocblas_complex_numIfEEviiT1_lllP24rocblas_check_numerics_s
    .private_segment_fixed_size: 0
    .sgpr_count:     14
    .sgpr_spill_count: 0
    .symbol:         _ZL39rocblas_check_numerics_ge_matrix_kernelILi16ELi16EPKPK19rocblas_complex_numIfEEviiT1_lllP24rocblas_check_numerics_s.kd
    .uniform_work_group_size: 1
    .uses_dynamic_stack: false
    .vgpr_count:     6
    .vgpr_spill_count: 0
    .wavefront_size: 32
  - .args:
      - .offset:         0
        .size:           1
        .value_kind:     by_value
      - .offset:         4
        .size:           4
        .value_kind:     by_value
      - .address_space:  global
        .offset:         8
        .size:           8
        .value_kind:     global_buffer
      - .offset:         16
        .size:           8
        .value_kind:     by_value
      - .offset:         24
        .size:           8
        .value_kind:     by_value
      - .offset:         32
        .size:           8
        .value_kind:     by_value
      - .address_space:  global
        .offset:         40
        .size:           8
        .value_kind:     global_buffer
      - .offset:         48
        .size:           4
        .value_kind:     hidden_block_count_x
      - .offset:         52
        .size:           4
        .value_kind:     hidden_block_count_y
      - .offset:         56
        .size:           4
        .value_kind:     hidden_block_count_z
      - .offset:         60
        .size:           2
        .value_kind:     hidden_group_size_x
      - .offset:         62
        .size:           2
        .value_kind:     hidden_group_size_y
      - .offset:         64
        .size:           2
        .value_kind:     hidden_group_size_z
      - .offset:         66
        .size:           2
        .value_kind:     hidden_remainder_x
      - .offset:         68
        .size:           2
        .value_kind:     hidden_remainder_y
      - .offset:         70
        .size:           2
        .value_kind:     hidden_remainder_z
      - .offset:         88
        .size:           8
        .value_kind:     hidden_global_offset_x
      - .offset:         96
        .size:           8
        .value_kind:     hidden_global_offset_y
      - .offset:         104
        .size:           8
        .value_kind:     hidden_global_offset_z
      - .offset:         112
        .size:           2
        .value_kind:     hidden_grid_dims
    .group_segment_fixed_size: 0
    .kernarg_segment_align: 8
    .kernarg_segment_size: 304
    .language:       OpenCL C
    .language_version:
      - 2
      - 0
    .max_flat_workgroup_size: 256
    .name:           _ZL49rocblas_check_numerics_sym_herm_tri_matrix_kernelILi16ELi16EPKPK19rocblas_complex_numIfEEvbiT1_lllP24rocblas_check_numerics_s
    .private_segment_fixed_size: 0
    .sgpr_count:     14
    .sgpr_spill_count: 0
    .symbol:         _ZL49rocblas_check_numerics_sym_herm_tri_matrix_kernelILi16ELi16EPKPK19rocblas_complex_numIfEEvbiT1_lllP24rocblas_check_numerics_s.kd
    .uniform_work_group_size: 1
    .uses_dynamic_stack: false
    .vgpr_count:     6
    .vgpr_spill_count: 0
    .wavefront_size: 32
  - .args:
      - .offset:         0
        .size:           4
        .value_kind:     by_value
      - .offset:         4
        .size:           4
        .value_kind:     by_value
      - .address_space:  global
        .offset:         8
        .size:           8
        .value_kind:     global_buffer
      - .offset:         16
        .size:           8
        .value_kind:     by_value
      - .offset:         24
        .size:           8
        .value_kind:     by_value
      - .offset:         32
        .size:           8
        .value_kind:     by_value
      - .address_space:  global
        .offset:         40
        .size:           8
        .value_kind:     global_buffer
      - .offset:         48
        .size:           4
        .value_kind:     hidden_block_count_x
      - .offset:         52
        .size:           4
        .value_kind:     hidden_block_count_y
      - .offset:         56
        .size:           4
        .value_kind:     hidden_block_count_z
      - .offset:         60
        .size:           2
        .value_kind:     hidden_group_size_x
      - .offset:         62
        .size:           2
        .value_kind:     hidden_group_size_y
      - .offset:         64
        .size:           2
        .value_kind:     hidden_group_size_z
      - .offset:         66
        .size:           2
        .value_kind:     hidden_remainder_x
      - .offset:         68
        .size:           2
        .value_kind:     hidden_remainder_y
      - .offset:         70
        .size:           2
        .value_kind:     hidden_remainder_z
      - .offset:         88
        .size:           8
        .value_kind:     hidden_global_offset_x
      - .offset:         96
        .size:           8
        .value_kind:     hidden_global_offset_y
      - .offset:         104
        .size:           8
        .value_kind:     hidden_global_offset_z
      - .offset:         112
        .size:           2
        .value_kind:     hidden_grid_dims
    .group_segment_fixed_size: 0
    .kernarg_segment_align: 8
    .kernarg_segment_size: 304
    .language:       OpenCL C
    .language_version:
      - 2
      - 0
    .max_flat_workgroup_size: 256
    .name:           _ZL39rocblas_check_numerics_ge_matrix_kernelILi16ELi16EP19rocblas_complex_numIdEEviiT1_lllP24rocblas_check_numerics_s
    .private_segment_fixed_size: 0
    .sgpr_count:     15
    .sgpr_spill_count: 0
    .symbol:         _ZL39rocblas_check_numerics_ge_matrix_kernelILi16ELi16EP19rocblas_complex_numIdEEviiT1_lllP24rocblas_check_numerics_s.kd
    .uniform_work_group_size: 1
    .uses_dynamic_stack: false
    .vgpr_count:     7
    .vgpr_spill_count: 0
    .wavefront_size: 32
  - .args:
      - .offset:         0
        .size:           1
        .value_kind:     by_value
      - .offset:         4
        .size:           4
        .value_kind:     by_value
      - .address_space:  global
        .offset:         8
        .size:           8
        .value_kind:     global_buffer
      - .offset:         16
        .size:           8
        .value_kind:     by_value
      - .offset:         24
        .size:           8
        .value_kind:     by_value
      - .offset:         32
        .size:           8
        .value_kind:     by_value
      - .address_space:  global
        .offset:         40
        .size:           8
        .value_kind:     global_buffer
      - .offset:         48
        .size:           4
        .value_kind:     hidden_block_count_x
      - .offset:         52
        .size:           4
        .value_kind:     hidden_block_count_y
      - .offset:         56
        .size:           4
        .value_kind:     hidden_block_count_z
      - .offset:         60
        .size:           2
        .value_kind:     hidden_group_size_x
      - .offset:         62
        .size:           2
        .value_kind:     hidden_group_size_y
      - .offset:         64
        .size:           2
        .value_kind:     hidden_group_size_z
      - .offset:         66
        .size:           2
        .value_kind:     hidden_remainder_x
      - .offset:         68
        .size:           2
        .value_kind:     hidden_remainder_y
      - .offset:         70
        .size:           2
        .value_kind:     hidden_remainder_z
      - .offset:         88
        .size:           8
        .value_kind:     hidden_global_offset_x
      - .offset:         96
        .size:           8
        .value_kind:     hidden_global_offset_y
      - .offset:         104
        .size:           8
        .value_kind:     hidden_global_offset_z
      - .offset:         112
        .size:           2
        .value_kind:     hidden_grid_dims
    .group_segment_fixed_size: 0
    .kernarg_segment_align: 8
    .kernarg_segment_size: 304
    .language:       OpenCL C
    .language_version:
      - 2
      - 0
    .max_flat_workgroup_size: 256
    .name:           _ZL49rocblas_check_numerics_sym_herm_tri_matrix_kernelILi16ELi16EP19rocblas_complex_numIdEEvbiT1_lllP24rocblas_check_numerics_s
    .private_segment_fixed_size: 0
    .sgpr_count:     15
    .sgpr_spill_count: 0
    .symbol:         _ZL49rocblas_check_numerics_sym_herm_tri_matrix_kernelILi16ELi16EP19rocblas_complex_numIdEEvbiT1_lllP24rocblas_check_numerics_s.kd
    .uniform_work_group_size: 1
    .uses_dynamic_stack: false
    .vgpr_count:     7
    .vgpr_spill_count: 0
    .wavefront_size: 32
  - .args:
      - .offset:         0
        .size:           4
        .value_kind:     by_value
      - .offset:         4
        .size:           4
        .value_kind:     by_value
      - .address_space:  global
        .offset:         8
        .size:           8
        .value_kind:     global_buffer
      - .offset:         16
        .size:           8
        .value_kind:     by_value
      - .offset:         24
        .size:           8
        .value_kind:     by_value
      - .offset:         32
        .size:           8
        .value_kind:     by_value
      - .address_space:  global
        .offset:         40
        .size:           8
        .value_kind:     global_buffer
      - .offset:         48
        .size:           4
        .value_kind:     hidden_block_count_x
      - .offset:         52
        .size:           4
        .value_kind:     hidden_block_count_y
      - .offset:         56
        .size:           4
        .value_kind:     hidden_block_count_z
      - .offset:         60
        .size:           2
        .value_kind:     hidden_group_size_x
      - .offset:         62
        .size:           2
        .value_kind:     hidden_group_size_y
      - .offset:         64
        .size:           2
        .value_kind:     hidden_group_size_z
      - .offset:         66
        .size:           2
        .value_kind:     hidden_remainder_x
      - .offset:         68
        .size:           2
        .value_kind:     hidden_remainder_y
      - .offset:         70
        .size:           2
        .value_kind:     hidden_remainder_z
      - .offset:         88
        .size:           8
        .value_kind:     hidden_global_offset_x
      - .offset:         96
        .size:           8
        .value_kind:     hidden_global_offset_y
      - .offset:         104
        .size:           8
        .value_kind:     hidden_global_offset_z
      - .offset:         112
        .size:           2
        .value_kind:     hidden_grid_dims
    .group_segment_fixed_size: 0
    .kernarg_segment_align: 8
    .kernarg_segment_size: 304
    .language:       OpenCL C
    .language_version:
      - 2
      - 0
    .max_flat_workgroup_size: 256
    .name:           _ZL39rocblas_check_numerics_ge_matrix_kernelILi16ELi16EPKP19rocblas_complex_numIdEEviiT1_lllP24rocblas_check_numerics_s
    .private_segment_fixed_size: 0
    .sgpr_count:     14
    .sgpr_spill_count: 0
    .symbol:         _ZL39rocblas_check_numerics_ge_matrix_kernelILi16ELi16EPKP19rocblas_complex_numIdEEviiT1_lllP24rocblas_check_numerics_s.kd
    .uniform_work_group_size: 1
    .uses_dynamic_stack: false
    .vgpr_count:     7
    .vgpr_spill_count: 0
    .wavefront_size: 32
  - .args:
      - .offset:         0
        .size:           1
        .value_kind:     by_value
      - .offset:         4
        .size:           4
        .value_kind:     by_value
      - .address_space:  global
        .offset:         8
        .size:           8
        .value_kind:     global_buffer
      - .offset:         16
        .size:           8
        .value_kind:     by_value
      - .offset:         24
        .size:           8
        .value_kind:     by_value
      - .offset:         32
        .size:           8
        .value_kind:     by_value
      - .address_space:  global
        .offset:         40
        .size:           8
        .value_kind:     global_buffer
      - .offset:         48
        .size:           4
        .value_kind:     hidden_block_count_x
      - .offset:         52
        .size:           4
        .value_kind:     hidden_block_count_y
      - .offset:         56
        .size:           4
        .value_kind:     hidden_block_count_z
      - .offset:         60
        .size:           2
        .value_kind:     hidden_group_size_x
      - .offset:         62
        .size:           2
        .value_kind:     hidden_group_size_y
      - .offset:         64
        .size:           2
        .value_kind:     hidden_group_size_z
      - .offset:         66
        .size:           2
        .value_kind:     hidden_remainder_x
      - .offset:         68
        .size:           2
        .value_kind:     hidden_remainder_y
      - .offset:         70
        .size:           2
        .value_kind:     hidden_remainder_z
      - .offset:         88
        .size:           8
        .value_kind:     hidden_global_offset_x
      - .offset:         96
        .size:           8
        .value_kind:     hidden_global_offset_y
      - .offset:         104
        .size:           8
        .value_kind:     hidden_global_offset_z
      - .offset:         112
        .size:           2
        .value_kind:     hidden_grid_dims
    .group_segment_fixed_size: 0
    .kernarg_segment_align: 8
    .kernarg_segment_size: 304
    .language:       OpenCL C
    .language_version:
      - 2
      - 0
    .max_flat_workgroup_size: 256
    .name:           _ZL49rocblas_check_numerics_sym_herm_tri_matrix_kernelILi16ELi16EPKP19rocblas_complex_numIdEEvbiT1_lllP24rocblas_check_numerics_s
    .private_segment_fixed_size: 0
    .sgpr_count:     14
    .sgpr_spill_count: 0
    .symbol:         _ZL49rocblas_check_numerics_sym_herm_tri_matrix_kernelILi16ELi16EPKP19rocblas_complex_numIdEEvbiT1_lllP24rocblas_check_numerics_s.kd
    .uniform_work_group_size: 1
    .uses_dynamic_stack: false
    .vgpr_count:     7
    .vgpr_spill_count: 0
    .wavefront_size: 32
  - .args:
      - .offset:         0
        .size:           4
        .value_kind:     by_value
      - .offset:         4
        .size:           4
        .value_kind:     by_value
      - .address_space:  global
        .offset:         8
        .size:           8
        .value_kind:     global_buffer
      - .offset:         16
        .size:           8
        .value_kind:     by_value
      - .offset:         24
        .size:           8
        .value_kind:     by_value
      - .offset:         32
        .size:           8
        .value_kind:     by_value
      - .address_space:  global
        .offset:         40
        .size:           8
        .value_kind:     global_buffer
      - .offset:         48
        .size:           4
        .value_kind:     hidden_block_count_x
      - .offset:         52
        .size:           4
        .value_kind:     hidden_block_count_y
      - .offset:         56
        .size:           4
        .value_kind:     hidden_block_count_z
      - .offset:         60
        .size:           2
        .value_kind:     hidden_group_size_x
      - .offset:         62
        .size:           2
        .value_kind:     hidden_group_size_y
      - .offset:         64
        .size:           2
        .value_kind:     hidden_group_size_z
      - .offset:         66
        .size:           2
        .value_kind:     hidden_remainder_x
      - .offset:         68
        .size:           2
        .value_kind:     hidden_remainder_y
      - .offset:         70
        .size:           2
        .value_kind:     hidden_remainder_z
      - .offset:         88
        .size:           8
        .value_kind:     hidden_global_offset_x
      - .offset:         96
        .size:           8
        .value_kind:     hidden_global_offset_y
      - .offset:         104
        .size:           8
        .value_kind:     hidden_global_offset_z
      - .offset:         112
        .size:           2
        .value_kind:     hidden_grid_dims
    .group_segment_fixed_size: 0
    .kernarg_segment_align: 8
    .kernarg_segment_size: 304
    .language:       OpenCL C
    .language_version:
      - 2
      - 0
    .max_flat_workgroup_size: 256
    .name:           _ZL39rocblas_check_numerics_ge_matrix_kernelILi16ELi16EPK19rocblas_complex_numIdEEviiT1_lllP24rocblas_check_numerics_s
    .private_segment_fixed_size: 0
    .sgpr_count:     15
    .sgpr_spill_count: 0
    .symbol:         _ZL39rocblas_check_numerics_ge_matrix_kernelILi16ELi16EPK19rocblas_complex_numIdEEviiT1_lllP24rocblas_check_numerics_s.kd
    .uniform_work_group_size: 1
    .uses_dynamic_stack: false
    .vgpr_count:     7
    .vgpr_spill_count: 0
    .wavefront_size: 32
  - .args:
      - .offset:         0
        .size:           1
        .value_kind:     by_value
      - .offset:         4
        .size:           4
        .value_kind:     by_value
      - .address_space:  global
        .offset:         8
        .size:           8
        .value_kind:     global_buffer
      - .offset:         16
        .size:           8
        .value_kind:     by_value
      - .offset:         24
        .size:           8
        .value_kind:     by_value
      - .offset:         32
        .size:           8
        .value_kind:     by_value
      - .address_space:  global
        .offset:         40
        .size:           8
        .value_kind:     global_buffer
      - .offset:         48
        .size:           4
        .value_kind:     hidden_block_count_x
      - .offset:         52
        .size:           4
        .value_kind:     hidden_block_count_y
      - .offset:         56
        .size:           4
        .value_kind:     hidden_block_count_z
      - .offset:         60
        .size:           2
        .value_kind:     hidden_group_size_x
      - .offset:         62
        .size:           2
        .value_kind:     hidden_group_size_y
      - .offset:         64
        .size:           2
        .value_kind:     hidden_group_size_z
      - .offset:         66
        .size:           2
        .value_kind:     hidden_remainder_x
      - .offset:         68
        .size:           2
        .value_kind:     hidden_remainder_y
      - .offset:         70
        .size:           2
        .value_kind:     hidden_remainder_z
      - .offset:         88
        .size:           8
        .value_kind:     hidden_global_offset_x
      - .offset:         96
        .size:           8
        .value_kind:     hidden_global_offset_y
      - .offset:         104
        .size:           8
        .value_kind:     hidden_global_offset_z
      - .offset:         112
        .size:           2
        .value_kind:     hidden_grid_dims
    .group_segment_fixed_size: 0
    .kernarg_segment_align: 8
    .kernarg_segment_size: 304
    .language:       OpenCL C
    .language_version:
      - 2
      - 0
    .max_flat_workgroup_size: 256
    .name:           _ZL49rocblas_check_numerics_sym_herm_tri_matrix_kernelILi16ELi16EPK19rocblas_complex_numIdEEvbiT1_lllP24rocblas_check_numerics_s
    .private_segment_fixed_size: 0
    .sgpr_count:     15
    .sgpr_spill_count: 0
    .symbol:         _ZL49rocblas_check_numerics_sym_herm_tri_matrix_kernelILi16ELi16EPK19rocblas_complex_numIdEEvbiT1_lllP24rocblas_check_numerics_s.kd
    .uniform_work_group_size: 1
    .uses_dynamic_stack: false
    .vgpr_count:     7
    .vgpr_spill_count: 0
    .wavefront_size: 32
  - .args:
      - .offset:         0
        .size:           4
        .value_kind:     by_value
      - .offset:         4
        .size:           4
        .value_kind:     by_value
      - .address_space:  global
        .offset:         8
        .size:           8
        .value_kind:     global_buffer
      - .offset:         16
        .size:           8
        .value_kind:     by_value
      - .offset:         24
        .size:           8
        .value_kind:     by_value
      - .offset:         32
        .size:           8
        .value_kind:     by_value
      - .address_space:  global
        .offset:         40
        .size:           8
        .value_kind:     global_buffer
      - .offset:         48
        .size:           4
        .value_kind:     hidden_block_count_x
      - .offset:         52
        .size:           4
        .value_kind:     hidden_block_count_y
      - .offset:         56
        .size:           4
        .value_kind:     hidden_block_count_z
      - .offset:         60
        .size:           2
        .value_kind:     hidden_group_size_x
      - .offset:         62
        .size:           2
        .value_kind:     hidden_group_size_y
      - .offset:         64
        .size:           2
        .value_kind:     hidden_group_size_z
      - .offset:         66
        .size:           2
        .value_kind:     hidden_remainder_x
      - .offset:         68
        .size:           2
        .value_kind:     hidden_remainder_y
      - .offset:         70
        .size:           2
        .value_kind:     hidden_remainder_z
      - .offset:         88
        .size:           8
        .value_kind:     hidden_global_offset_x
      - .offset:         96
        .size:           8
        .value_kind:     hidden_global_offset_y
      - .offset:         104
        .size:           8
        .value_kind:     hidden_global_offset_z
      - .offset:         112
        .size:           2
        .value_kind:     hidden_grid_dims
    .group_segment_fixed_size: 0
    .kernarg_segment_align: 8
    .kernarg_segment_size: 304
    .language:       OpenCL C
    .language_version:
      - 2
      - 0
    .max_flat_workgroup_size: 256
    .name:           _ZL39rocblas_check_numerics_ge_matrix_kernelILi16ELi16EPKPK19rocblas_complex_numIdEEviiT1_lllP24rocblas_check_numerics_s
    .private_segment_fixed_size: 0
    .sgpr_count:     14
    .sgpr_spill_count: 0
    .symbol:         _ZL39rocblas_check_numerics_ge_matrix_kernelILi16ELi16EPKPK19rocblas_complex_numIdEEviiT1_lllP24rocblas_check_numerics_s.kd
    .uniform_work_group_size: 1
    .uses_dynamic_stack: false
    .vgpr_count:     7
    .vgpr_spill_count: 0
    .wavefront_size: 32
  - .args:
      - .offset:         0
        .size:           1
        .value_kind:     by_value
      - .offset:         4
        .size:           4
        .value_kind:     by_value
      - .address_space:  global
        .offset:         8
        .size:           8
        .value_kind:     global_buffer
      - .offset:         16
        .size:           8
        .value_kind:     by_value
      - .offset:         24
        .size:           8
        .value_kind:     by_value
      - .offset:         32
        .size:           8
        .value_kind:     by_value
      - .address_space:  global
        .offset:         40
        .size:           8
        .value_kind:     global_buffer
      - .offset:         48
        .size:           4
        .value_kind:     hidden_block_count_x
      - .offset:         52
        .size:           4
        .value_kind:     hidden_block_count_y
      - .offset:         56
        .size:           4
        .value_kind:     hidden_block_count_z
      - .offset:         60
        .size:           2
        .value_kind:     hidden_group_size_x
      - .offset:         62
        .size:           2
        .value_kind:     hidden_group_size_y
      - .offset:         64
        .size:           2
        .value_kind:     hidden_group_size_z
      - .offset:         66
        .size:           2
        .value_kind:     hidden_remainder_x
      - .offset:         68
        .size:           2
        .value_kind:     hidden_remainder_y
      - .offset:         70
        .size:           2
        .value_kind:     hidden_remainder_z
      - .offset:         88
        .size:           8
        .value_kind:     hidden_global_offset_x
      - .offset:         96
        .size:           8
        .value_kind:     hidden_global_offset_y
      - .offset:         104
        .size:           8
        .value_kind:     hidden_global_offset_z
      - .offset:         112
        .size:           2
        .value_kind:     hidden_grid_dims
    .group_segment_fixed_size: 0
    .kernarg_segment_align: 8
    .kernarg_segment_size: 304
    .language:       OpenCL C
    .language_version:
      - 2
      - 0
    .max_flat_workgroup_size: 256
    .name:           _ZL49rocblas_check_numerics_sym_herm_tri_matrix_kernelILi16ELi16EPKPK19rocblas_complex_numIdEEvbiT1_lllP24rocblas_check_numerics_s
    .private_segment_fixed_size: 0
    .sgpr_count:     14
    .sgpr_spill_count: 0
    .symbol:         _ZL49rocblas_check_numerics_sym_herm_tri_matrix_kernelILi16ELi16EPKPK19rocblas_complex_numIdEEvbiT1_lllP24rocblas_check_numerics_s.kd
    .uniform_work_group_size: 1
    .uses_dynamic_stack: false
    .vgpr_count:     7
    .vgpr_spill_count: 0
    .wavefront_size: 32
  - .args:
      - .offset:         0
        .size:           4
        .value_kind:     by_value
      - .offset:         4
        .size:           4
        .value_kind:     by_value
      - .address_space:  global
        .offset:         8
        .size:           8
        .value_kind:     global_buffer
      - .offset:         16
        .size:           8
        .value_kind:     by_value
      - .offset:         24
        .size:           8
        .value_kind:     by_value
      - .offset:         32
        .size:           8
        .value_kind:     by_value
      - .address_space:  global
        .offset:         40
        .size:           8
        .value_kind:     global_buffer
      - .offset:         48
        .size:           4
        .value_kind:     hidden_block_count_x
      - .offset:         52
        .size:           4
        .value_kind:     hidden_block_count_y
      - .offset:         56
        .size:           4
        .value_kind:     hidden_block_count_z
      - .offset:         60
        .size:           2
        .value_kind:     hidden_group_size_x
      - .offset:         62
        .size:           2
        .value_kind:     hidden_group_size_y
      - .offset:         64
        .size:           2
        .value_kind:     hidden_group_size_z
      - .offset:         66
        .size:           2
        .value_kind:     hidden_remainder_x
      - .offset:         68
        .size:           2
        .value_kind:     hidden_remainder_y
      - .offset:         70
        .size:           2
        .value_kind:     hidden_remainder_z
      - .offset:         88
        .size:           8
        .value_kind:     hidden_global_offset_x
      - .offset:         96
        .size:           8
        .value_kind:     hidden_global_offset_y
      - .offset:         104
        .size:           8
        .value_kind:     hidden_global_offset_z
      - .offset:         112
        .size:           2
        .value_kind:     hidden_grid_dims
    .group_segment_fixed_size: 0
    .kernarg_segment_align: 8
    .kernarg_segment_size: 304
    .language:       OpenCL C
    .language_version:
      - 2
      - 0
    .max_flat_workgroup_size: 256
    .name:           _ZL39rocblas_check_numerics_ge_matrix_kernelILi16ELi16EPDF16_EviiT1_lllP24rocblas_check_numerics_s
    .private_segment_fixed_size: 0
    .sgpr_count:     16
    .sgpr_spill_count: 0
    .symbol:         _ZL39rocblas_check_numerics_ge_matrix_kernelILi16ELi16EPDF16_EviiT1_lllP24rocblas_check_numerics_s.kd
    .uniform_work_group_size: 1
    .uses_dynamic_stack: false
    .vgpr_count:     6
    .vgpr_spill_count: 0
    .wavefront_size: 32
  - .args:
      - .offset:         0
        .size:           1
        .value_kind:     by_value
      - .offset:         4
        .size:           4
        .value_kind:     by_value
      - .address_space:  global
        .offset:         8
        .size:           8
        .value_kind:     global_buffer
      - .offset:         16
        .size:           8
        .value_kind:     by_value
      - .offset:         24
        .size:           8
        .value_kind:     by_value
      - .offset:         32
        .size:           8
        .value_kind:     by_value
      - .address_space:  global
        .offset:         40
        .size:           8
        .value_kind:     global_buffer
      - .offset:         48
        .size:           4
        .value_kind:     hidden_block_count_x
      - .offset:         52
        .size:           4
        .value_kind:     hidden_block_count_y
      - .offset:         56
        .size:           4
        .value_kind:     hidden_block_count_z
      - .offset:         60
        .size:           2
        .value_kind:     hidden_group_size_x
      - .offset:         62
        .size:           2
        .value_kind:     hidden_group_size_y
      - .offset:         64
        .size:           2
        .value_kind:     hidden_group_size_z
      - .offset:         66
        .size:           2
        .value_kind:     hidden_remainder_x
      - .offset:         68
        .size:           2
        .value_kind:     hidden_remainder_y
      - .offset:         70
        .size:           2
        .value_kind:     hidden_remainder_z
      - .offset:         88
        .size:           8
        .value_kind:     hidden_global_offset_x
      - .offset:         96
        .size:           8
        .value_kind:     hidden_global_offset_y
      - .offset:         104
        .size:           8
        .value_kind:     hidden_global_offset_z
      - .offset:         112
        .size:           2
        .value_kind:     hidden_grid_dims
    .group_segment_fixed_size: 0
    .kernarg_segment_align: 8
    .kernarg_segment_size: 304
    .language:       OpenCL C
    .language_version:
      - 2
      - 0
    .max_flat_workgroup_size: 256
    .name:           _ZL49rocblas_check_numerics_sym_herm_tri_matrix_kernelILi16ELi16EPDF16_EvbiT1_lllP24rocblas_check_numerics_s
    .private_segment_fixed_size: 0
    .sgpr_count:     15
    .sgpr_spill_count: 0
    .symbol:         _ZL49rocblas_check_numerics_sym_herm_tri_matrix_kernelILi16ELi16EPDF16_EvbiT1_lllP24rocblas_check_numerics_s.kd
    .uniform_work_group_size: 1
    .uses_dynamic_stack: false
    .vgpr_count:     6
    .vgpr_spill_count: 0
    .wavefront_size: 32
  - .args:
      - .offset:         0
        .size:           4
        .value_kind:     by_value
      - .offset:         4
        .size:           4
        .value_kind:     by_value
      - .address_space:  global
        .offset:         8
        .size:           8
        .value_kind:     global_buffer
      - .offset:         16
        .size:           8
        .value_kind:     by_value
      - .offset:         24
        .size:           8
        .value_kind:     by_value
      - .offset:         32
        .size:           8
        .value_kind:     by_value
      - .address_space:  global
        .offset:         40
        .size:           8
        .value_kind:     global_buffer
      - .offset:         48
        .size:           4
        .value_kind:     hidden_block_count_x
      - .offset:         52
        .size:           4
        .value_kind:     hidden_block_count_y
      - .offset:         56
        .size:           4
        .value_kind:     hidden_block_count_z
      - .offset:         60
        .size:           2
        .value_kind:     hidden_group_size_x
      - .offset:         62
        .size:           2
        .value_kind:     hidden_group_size_y
      - .offset:         64
        .size:           2
        .value_kind:     hidden_group_size_z
      - .offset:         66
        .size:           2
        .value_kind:     hidden_remainder_x
      - .offset:         68
        .size:           2
        .value_kind:     hidden_remainder_y
      - .offset:         70
        .size:           2
        .value_kind:     hidden_remainder_z
      - .offset:         88
        .size:           8
        .value_kind:     hidden_global_offset_x
      - .offset:         96
        .size:           8
        .value_kind:     hidden_global_offset_y
      - .offset:         104
        .size:           8
        .value_kind:     hidden_global_offset_z
      - .offset:         112
        .size:           2
        .value_kind:     hidden_grid_dims
    .group_segment_fixed_size: 0
    .kernarg_segment_align: 8
    .kernarg_segment_size: 304
    .language:       OpenCL C
    .language_version:
      - 2
      - 0
    .max_flat_workgroup_size: 256
    .name:           _ZL39rocblas_check_numerics_ge_matrix_kernelILi16ELi16EPKPDF16_EviiT1_lllP24rocblas_check_numerics_s
    .private_segment_fixed_size: 0
    .sgpr_count:     13
    .sgpr_spill_count: 0
    .symbol:         _ZL39rocblas_check_numerics_ge_matrix_kernelILi16ELi16EPKPDF16_EviiT1_lllP24rocblas_check_numerics_s.kd
    .uniform_work_group_size: 1
    .uses_dynamic_stack: false
    .vgpr_count:     6
    .vgpr_spill_count: 0
    .wavefront_size: 32
  - .args:
      - .offset:         0
        .size:           1
        .value_kind:     by_value
      - .offset:         4
        .size:           4
        .value_kind:     by_value
      - .address_space:  global
        .offset:         8
        .size:           8
        .value_kind:     global_buffer
      - .offset:         16
        .size:           8
        .value_kind:     by_value
      - .offset:         24
        .size:           8
        .value_kind:     by_value
      - .offset:         32
        .size:           8
        .value_kind:     by_value
      - .address_space:  global
        .offset:         40
        .size:           8
        .value_kind:     global_buffer
      - .offset:         48
        .size:           4
        .value_kind:     hidden_block_count_x
      - .offset:         52
        .size:           4
        .value_kind:     hidden_block_count_y
      - .offset:         56
        .size:           4
        .value_kind:     hidden_block_count_z
      - .offset:         60
        .size:           2
        .value_kind:     hidden_group_size_x
      - .offset:         62
        .size:           2
        .value_kind:     hidden_group_size_y
      - .offset:         64
        .size:           2
        .value_kind:     hidden_group_size_z
      - .offset:         66
        .size:           2
        .value_kind:     hidden_remainder_x
      - .offset:         68
        .size:           2
        .value_kind:     hidden_remainder_y
      - .offset:         70
        .size:           2
        .value_kind:     hidden_remainder_z
      - .offset:         88
        .size:           8
        .value_kind:     hidden_global_offset_x
      - .offset:         96
        .size:           8
        .value_kind:     hidden_global_offset_y
      - .offset:         104
        .size:           8
        .value_kind:     hidden_global_offset_z
      - .offset:         112
        .size:           2
        .value_kind:     hidden_grid_dims
    .group_segment_fixed_size: 0
    .kernarg_segment_align: 8
    .kernarg_segment_size: 304
    .language:       OpenCL C
    .language_version:
      - 2
      - 0
    .max_flat_workgroup_size: 256
    .name:           _ZL49rocblas_check_numerics_sym_herm_tri_matrix_kernelILi16ELi16EPKPDF16_EvbiT1_lllP24rocblas_check_numerics_s
    .private_segment_fixed_size: 0
    .sgpr_count:     14
    .sgpr_spill_count: 0
    .symbol:         _ZL49rocblas_check_numerics_sym_herm_tri_matrix_kernelILi16ELi16EPKPDF16_EvbiT1_lllP24rocblas_check_numerics_s.kd
    .uniform_work_group_size: 1
    .uses_dynamic_stack: false
    .vgpr_count:     6
    .vgpr_spill_count: 0
    .wavefront_size: 32
  - .args:
      - .offset:         0
        .size:           4
        .value_kind:     by_value
      - .offset:         4
        .size:           4
        .value_kind:     by_value
      - .address_space:  global
        .offset:         8
        .size:           8
        .value_kind:     global_buffer
      - .offset:         16
        .size:           8
        .value_kind:     by_value
      - .offset:         24
        .size:           8
        .value_kind:     by_value
      - .offset:         32
        .size:           8
        .value_kind:     by_value
      - .address_space:  global
        .offset:         40
        .size:           8
        .value_kind:     global_buffer
      - .offset:         48
        .size:           4
        .value_kind:     hidden_block_count_x
      - .offset:         52
        .size:           4
        .value_kind:     hidden_block_count_y
      - .offset:         56
        .size:           4
        .value_kind:     hidden_block_count_z
      - .offset:         60
        .size:           2
        .value_kind:     hidden_group_size_x
      - .offset:         62
        .size:           2
        .value_kind:     hidden_group_size_y
      - .offset:         64
        .size:           2
        .value_kind:     hidden_group_size_z
      - .offset:         66
        .size:           2
        .value_kind:     hidden_remainder_x
      - .offset:         68
        .size:           2
        .value_kind:     hidden_remainder_y
      - .offset:         70
        .size:           2
        .value_kind:     hidden_remainder_z
      - .offset:         88
        .size:           8
        .value_kind:     hidden_global_offset_x
      - .offset:         96
        .size:           8
        .value_kind:     hidden_global_offset_y
      - .offset:         104
        .size:           8
        .value_kind:     hidden_global_offset_z
      - .offset:         112
        .size:           2
        .value_kind:     hidden_grid_dims
    .group_segment_fixed_size: 0
    .kernarg_segment_align: 8
    .kernarg_segment_size: 304
    .language:       OpenCL C
    .language_version:
      - 2
      - 0
    .max_flat_workgroup_size: 256
    .name:           _ZL39rocblas_check_numerics_ge_matrix_kernelILi16ELi16EPKDF16_EviiT1_lllP24rocblas_check_numerics_s
    .private_segment_fixed_size: 0
    .sgpr_count:     16
    .sgpr_spill_count: 0
    .symbol:         _ZL39rocblas_check_numerics_ge_matrix_kernelILi16ELi16EPKDF16_EviiT1_lllP24rocblas_check_numerics_s.kd
    .uniform_work_group_size: 1
    .uses_dynamic_stack: false
    .vgpr_count:     6
    .vgpr_spill_count: 0
    .wavefront_size: 32
  - .args:
      - .offset:         0
        .size:           1
        .value_kind:     by_value
      - .offset:         4
        .size:           4
        .value_kind:     by_value
      - .address_space:  global
        .offset:         8
        .size:           8
        .value_kind:     global_buffer
      - .offset:         16
        .size:           8
        .value_kind:     by_value
      - .offset:         24
        .size:           8
        .value_kind:     by_value
      - .offset:         32
        .size:           8
        .value_kind:     by_value
      - .address_space:  global
        .offset:         40
        .size:           8
        .value_kind:     global_buffer
      - .offset:         48
        .size:           4
        .value_kind:     hidden_block_count_x
      - .offset:         52
        .size:           4
        .value_kind:     hidden_block_count_y
      - .offset:         56
        .size:           4
        .value_kind:     hidden_block_count_z
      - .offset:         60
        .size:           2
        .value_kind:     hidden_group_size_x
      - .offset:         62
        .size:           2
        .value_kind:     hidden_group_size_y
      - .offset:         64
        .size:           2
        .value_kind:     hidden_group_size_z
      - .offset:         66
        .size:           2
        .value_kind:     hidden_remainder_x
      - .offset:         68
        .size:           2
        .value_kind:     hidden_remainder_y
      - .offset:         70
        .size:           2
        .value_kind:     hidden_remainder_z
      - .offset:         88
        .size:           8
        .value_kind:     hidden_global_offset_x
      - .offset:         96
        .size:           8
        .value_kind:     hidden_global_offset_y
      - .offset:         104
        .size:           8
        .value_kind:     hidden_global_offset_z
      - .offset:         112
        .size:           2
        .value_kind:     hidden_grid_dims
    .group_segment_fixed_size: 0
    .kernarg_segment_align: 8
    .kernarg_segment_size: 304
    .language:       OpenCL C
    .language_version:
      - 2
      - 0
    .max_flat_workgroup_size: 256
    .name:           _ZL49rocblas_check_numerics_sym_herm_tri_matrix_kernelILi16ELi16EPKDF16_EvbiT1_lllP24rocblas_check_numerics_s
    .private_segment_fixed_size: 0
    .sgpr_count:     15
    .sgpr_spill_count: 0
    .symbol:         _ZL49rocblas_check_numerics_sym_herm_tri_matrix_kernelILi16ELi16EPKDF16_EvbiT1_lllP24rocblas_check_numerics_s.kd
    .uniform_work_group_size: 1
    .uses_dynamic_stack: false
    .vgpr_count:     6
    .vgpr_spill_count: 0
    .wavefront_size: 32
  - .args:
      - .offset:         0
        .size:           4
        .value_kind:     by_value
      - .offset:         4
        .size:           4
        .value_kind:     by_value
      - .address_space:  global
        .offset:         8
        .size:           8
        .value_kind:     global_buffer
      - .offset:         16
        .size:           8
        .value_kind:     by_value
      - .offset:         24
        .size:           8
        .value_kind:     by_value
      - .offset:         32
        .size:           8
        .value_kind:     by_value
      - .address_space:  global
        .offset:         40
        .size:           8
        .value_kind:     global_buffer
      - .offset:         48
        .size:           4
        .value_kind:     hidden_block_count_x
      - .offset:         52
        .size:           4
        .value_kind:     hidden_block_count_y
      - .offset:         56
        .size:           4
        .value_kind:     hidden_block_count_z
      - .offset:         60
        .size:           2
        .value_kind:     hidden_group_size_x
      - .offset:         62
        .size:           2
        .value_kind:     hidden_group_size_y
      - .offset:         64
        .size:           2
        .value_kind:     hidden_group_size_z
      - .offset:         66
        .size:           2
        .value_kind:     hidden_remainder_x
      - .offset:         68
        .size:           2
        .value_kind:     hidden_remainder_y
      - .offset:         70
        .size:           2
        .value_kind:     hidden_remainder_z
      - .offset:         88
        .size:           8
        .value_kind:     hidden_global_offset_x
      - .offset:         96
        .size:           8
        .value_kind:     hidden_global_offset_y
      - .offset:         104
        .size:           8
        .value_kind:     hidden_global_offset_z
      - .offset:         112
        .size:           2
        .value_kind:     hidden_grid_dims
    .group_segment_fixed_size: 0
    .kernarg_segment_align: 8
    .kernarg_segment_size: 304
    .language:       OpenCL C
    .language_version:
      - 2
      - 0
    .max_flat_workgroup_size: 256
    .name:           _ZL39rocblas_check_numerics_ge_matrix_kernelILi16ELi16EPKPKDF16_EviiT1_lllP24rocblas_check_numerics_s
    .private_segment_fixed_size: 0
    .sgpr_count:     13
    .sgpr_spill_count: 0
    .symbol:         _ZL39rocblas_check_numerics_ge_matrix_kernelILi16ELi16EPKPKDF16_EviiT1_lllP24rocblas_check_numerics_s.kd
    .uniform_work_group_size: 1
    .uses_dynamic_stack: false
    .vgpr_count:     6
    .vgpr_spill_count: 0
    .wavefront_size: 32
  - .args:
      - .offset:         0
        .size:           1
        .value_kind:     by_value
      - .offset:         4
        .size:           4
        .value_kind:     by_value
      - .address_space:  global
        .offset:         8
        .size:           8
        .value_kind:     global_buffer
      - .offset:         16
        .size:           8
        .value_kind:     by_value
      - .offset:         24
        .size:           8
        .value_kind:     by_value
      - .offset:         32
        .size:           8
        .value_kind:     by_value
      - .address_space:  global
        .offset:         40
        .size:           8
        .value_kind:     global_buffer
      - .offset:         48
        .size:           4
        .value_kind:     hidden_block_count_x
      - .offset:         52
        .size:           4
        .value_kind:     hidden_block_count_y
      - .offset:         56
        .size:           4
        .value_kind:     hidden_block_count_z
      - .offset:         60
        .size:           2
        .value_kind:     hidden_group_size_x
      - .offset:         62
        .size:           2
        .value_kind:     hidden_group_size_y
      - .offset:         64
        .size:           2
        .value_kind:     hidden_group_size_z
      - .offset:         66
        .size:           2
        .value_kind:     hidden_remainder_x
      - .offset:         68
        .size:           2
        .value_kind:     hidden_remainder_y
      - .offset:         70
        .size:           2
        .value_kind:     hidden_remainder_z
      - .offset:         88
        .size:           8
        .value_kind:     hidden_global_offset_x
      - .offset:         96
        .size:           8
        .value_kind:     hidden_global_offset_y
      - .offset:         104
        .size:           8
        .value_kind:     hidden_global_offset_z
      - .offset:         112
        .size:           2
        .value_kind:     hidden_grid_dims
    .group_segment_fixed_size: 0
    .kernarg_segment_align: 8
    .kernarg_segment_size: 304
    .language:       OpenCL C
    .language_version:
      - 2
      - 0
    .max_flat_workgroup_size: 256
    .name:           _ZL49rocblas_check_numerics_sym_herm_tri_matrix_kernelILi16ELi16EPKPKDF16_EvbiT1_lllP24rocblas_check_numerics_s
    .private_segment_fixed_size: 0
    .sgpr_count:     14
    .sgpr_spill_count: 0
    .symbol:         _ZL49rocblas_check_numerics_sym_herm_tri_matrix_kernelILi16ELi16EPKPKDF16_EvbiT1_lllP24rocblas_check_numerics_s.kd
    .uniform_work_group_size: 1
    .uses_dynamic_stack: false
    .vgpr_count:     6
    .vgpr_spill_count: 0
    .wavefront_size: 32
  - .args:
      - .offset:         0
        .size:           4
        .value_kind:     by_value
      - .offset:         4
        .size:           4
        .value_kind:     by_value
      - .address_space:  global
        .offset:         8
        .size:           8
        .value_kind:     global_buffer
      - .offset:         16
        .size:           8
        .value_kind:     by_value
      - .offset:         24
        .size:           8
        .value_kind:     by_value
      - .offset:         32
        .size:           8
        .value_kind:     by_value
      - .address_space:  global
        .offset:         40
        .size:           8
        .value_kind:     global_buffer
      - .offset:         48
        .size:           4
        .value_kind:     hidden_block_count_x
      - .offset:         52
        .size:           4
        .value_kind:     hidden_block_count_y
      - .offset:         56
        .size:           4
        .value_kind:     hidden_block_count_z
      - .offset:         60
        .size:           2
        .value_kind:     hidden_group_size_x
      - .offset:         62
        .size:           2
        .value_kind:     hidden_group_size_y
      - .offset:         64
        .size:           2
        .value_kind:     hidden_group_size_z
      - .offset:         66
        .size:           2
        .value_kind:     hidden_remainder_x
      - .offset:         68
        .size:           2
        .value_kind:     hidden_remainder_y
      - .offset:         70
        .size:           2
        .value_kind:     hidden_remainder_z
      - .offset:         88
        .size:           8
        .value_kind:     hidden_global_offset_x
      - .offset:         96
        .size:           8
        .value_kind:     hidden_global_offset_y
      - .offset:         104
        .size:           8
        .value_kind:     hidden_global_offset_z
      - .offset:         112
        .size:           2
        .value_kind:     hidden_grid_dims
    .group_segment_fixed_size: 0
    .kernarg_segment_align: 8
    .kernarg_segment_size: 304
    .language:       OpenCL C
    .language_version:
      - 2
      - 0
    .max_flat_workgroup_size: 256
    .name:           _ZL39rocblas_check_numerics_ge_matrix_kernelILi16ELi16EP16rocblas_bfloat16EviiT1_lllP24rocblas_check_numerics_s
    .private_segment_fixed_size: 0
    .sgpr_count:     16
    .sgpr_spill_count: 0
    .symbol:         _ZL39rocblas_check_numerics_ge_matrix_kernelILi16ELi16EP16rocblas_bfloat16EviiT1_lllP24rocblas_check_numerics_s.kd
    .uniform_work_group_size: 1
    .uses_dynamic_stack: false
    .vgpr_count:     6
    .vgpr_spill_count: 0
    .wavefront_size: 32
  - .args:
      - .offset:         0
        .size:           1
        .value_kind:     by_value
      - .offset:         4
        .size:           4
        .value_kind:     by_value
      - .address_space:  global
        .offset:         8
        .size:           8
        .value_kind:     global_buffer
      - .offset:         16
        .size:           8
        .value_kind:     by_value
      - .offset:         24
        .size:           8
        .value_kind:     by_value
      - .offset:         32
        .size:           8
        .value_kind:     by_value
      - .address_space:  global
        .offset:         40
        .size:           8
        .value_kind:     global_buffer
      - .offset:         48
        .size:           4
        .value_kind:     hidden_block_count_x
      - .offset:         52
        .size:           4
        .value_kind:     hidden_block_count_y
      - .offset:         56
        .size:           4
        .value_kind:     hidden_block_count_z
      - .offset:         60
        .size:           2
        .value_kind:     hidden_group_size_x
      - .offset:         62
        .size:           2
        .value_kind:     hidden_group_size_y
      - .offset:         64
        .size:           2
        .value_kind:     hidden_group_size_z
      - .offset:         66
        .size:           2
        .value_kind:     hidden_remainder_x
      - .offset:         68
        .size:           2
        .value_kind:     hidden_remainder_y
      - .offset:         70
        .size:           2
        .value_kind:     hidden_remainder_z
      - .offset:         88
        .size:           8
        .value_kind:     hidden_global_offset_x
      - .offset:         96
        .size:           8
        .value_kind:     hidden_global_offset_y
      - .offset:         104
        .size:           8
        .value_kind:     hidden_global_offset_z
      - .offset:         112
        .size:           2
        .value_kind:     hidden_grid_dims
    .group_segment_fixed_size: 0
    .kernarg_segment_align: 8
    .kernarg_segment_size: 304
    .language:       OpenCL C
    .language_version:
      - 2
      - 0
    .max_flat_workgroup_size: 256
    .name:           _ZL49rocblas_check_numerics_sym_herm_tri_matrix_kernelILi16ELi16EP16rocblas_bfloat16EvbiT1_lllP24rocblas_check_numerics_s
    .private_segment_fixed_size: 0
    .sgpr_count:     16
    .sgpr_spill_count: 0
    .symbol:         _ZL49rocblas_check_numerics_sym_herm_tri_matrix_kernelILi16ELi16EP16rocblas_bfloat16EvbiT1_lllP24rocblas_check_numerics_s.kd
    .uniform_work_group_size: 1
    .uses_dynamic_stack: false
    .vgpr_count:     6
    .vgpr_spill_count: 0
    .wavefront_size: 32
  - .args:
      - .offset:         0
        .size:           4
        .value_kind:     by_value
      - .offset:         4
        .size:           4
        .value_kind:     by_value
      - .address_space:  global
        .offset:         8
        .size:           8
        .value_kind:     global_buffer
      - .offset:         16
        .size:           8
        .value_kind:     by_value
      - .offset:         24
        .size:           8
        .value_kind:     by_value
      - .offset:         32
        .size:           8
        .value_kind:     by_value
      - .address_space:  global
        .offset:         40
        .size:           8
        .value_kind:     global_buffer
      - .offset:         48
        .size:           4
        .value_kind:     hidden_block_count_x
      - .offset:         52
        .size:           4
        .value_kind:     hidden_block_count_y
      - .offset:         56
        .size:           4
        .value_kind:     hidden_block_count_z
      - .offset:         60
        .size:           2
        .value_kind:     hidden_group_size_x
      - .offset:         62
        .size:           2
        .value_kind:     hidden_group_size_y
      - .offset:         64
        .size:           2
        .value_kind:     hidden_group_size_z
      - .offset:         66
        .size:           2
        .value_kind:     hidden_remainder_x
      - .offset:         68
        .size:           2
        .value_kind:     hidden_remainder_y
      - .offset:         70
        .size:           2
        .value_kind:     hidden_remainder_z
      - .offset:         88
        .size:           8
        .value_kind:     hidden_global_offset_x
      - .offset:         96
        .size:           8
        .value_kind:     hidden_global_offset_y
      - .offset:         104
        .size:           8
        .value_kind:     hidden_global_offset_z
      - .offset:         112
        .size:           2
        .value_kind:     hidden_grid_dims
    .group_segment_fixed_size: 0
    .kernarg_segment_align: 8
    .kernarg_segment_size: 304
    .language:       OpenCL C
    .language_version:
      - 2
      - 0
    .max_flat_workgroup_size: 256
    .name:           _ZL39rocblas_check_numerics_ge_matrix_kernelILi16ELi16EPKP16rocblas_bfloat16EviiT1_lllP24rocblas_check_numerics_s
    .private_segment_fixed_size: 0
    .sgpr_count:     13
    .sgpr_spill_count: 0
    .symbol:         _ZL39rocblas_check_numerics_ge_matrix_kernelILi16ELi16EPKP16rocblas_bfloat16EviiT1_lllP24rocblas_check_numerics_s.kd
    .uniform_work_group_size: 1
    .uses_dynamic_stack: false
    .vgpr_count:     6
    .vgpr_spill_count: 0
    .wavefront_size: 32
  - .args:
      - .offset:         0
        .size:           1
        .value_kind:     by_value
      - .offset:         4
        .size:           4
        .value_kind:     by_value
      - .address_space:  global
        .offset:         8
        .size:           8
        .value_kind:     global_buffer
      - .offset:         16
        .size:           8
        .value_kind:     by_value
      - .offset:         24
        .size:           8
        .value_kind:     by_value
      - .offset:         32
        .size:           8
        .value_kind:     by_value
      - .address_space:  global
        .offset:         40
        .size:           8
        .value_kind:     global_buffer
      - .offset:         48
        .size:           4
        .value_kind:     hidden_block_count_x
      - .offset:         52
        .size:           4
        .value_kind:     hidden_block_count_y
      - .offset:         56
        .size:           4
        .value_kind:     hidden_block_count_z
      - .offset:         60
        .size:           2
        .value_kind:     hidden_group_size_x
      - .offset:         62
        .size:           2
        .value_kind:     hidden_group_size_y
      - .offset:         64
        .size:           2
        .value_kind:     hidden_group_size_z
      - .offset:         66
        .size:           2
        .value_kind:     hidden_remainder_x
      - .offset:         68
        .size:           2
        .value_kind:     hidden_remainder_y
      - .offset:         70
        .size:           2
        .value_kind:     hidden_remainder_z
      - .offset:         88
        .size:           8
        .value_kind:     hidden_global_offset_x
      - .offset:         96
        .size:           8
        .value_kind:     hidden_global_offset_y
      - .offset:         104
        .size:           8
        .value_kind:     hidden_global_offset_z
      - .offset:         112
        .size:           2
        .value_kind:     hidden_grid_dims
    .group_segment_fixed_size: 0
    .kernarg_segment_align: 8
    .kernarg_segment_size: 304
    .language:       OpenCL C
    .language_version:
      - 2
      - 0
    .max_flat_workgroup_size: 256
    .name:           _ZL49rocblas_check_numerics_sym_herm_tri_matrix_kernelILi16ELi16EPKP16rocblas_bfloat16EvbiT1_lllP24rocblas_check_numerics_s
    .private_segment_fixed_size: 0
    .sgpr_count:     14
    .sgpr_spill_count: 0
    .symbol:         _ZL49rocblas_check_numerics_sym_herm_tri_matrix_kernelILi16ELi16EPKP16rocblas_bfloat16EvbiT1_lllP24rocblas_check_numerics_s.kd
    .uniform_work_group_size: 1
    .uses_dynamic_stack: false
    .vgpr_count:     6
    .vgpr_spill_count: 0
    .wavefront_size: 32
  - .args:
      - .offset:         0
        .size:           4
        .value_kind:     by_value
      - .offset:         4
        .size:           4
        .value_kind:     by_value
      - .address_space:  global
        .offset:         8
        .size:           8
        .value_kind:     global_buffer
      - .offset:         16
        .size:           8
        .value_kind:     by_value
      - .offset:         24
        .size:           8
        .value_kind:     by_value
      - .offset:         32
        .size:           8
        .value_kind:     by_value
      - .address_space:  global
        .offset:         40
        .size:           8
        .value_kind:     global_buffer
      - .offset:         48
        .size:           4
        .value_kind:     hidden_block_count_x
      - .offset:         52
        .size:           4
        .value_kind:     hidden_block_count_y
      - .offset:         56
        .size:           4
        .value_kind:     hidden_block_count_z
      - .offset:         60
        .size:           2
        .value_kind:     hidden_group_size_x
      - .offset:         62
        .size:           2
        .value_kind:     hidden_group_size_y
      - .offset:         64
        .size:           2
        .value_kind:     hidden_group_size_z
      - .offset:         66
        .size:           2
        .value_kind:     hidden_remainder_x
      - .offset:         68
        .size:           2
        .value_kind:     hidden_remainder_y
      - .offset:         70
        .size:           2
        .value_kind:     hidden_remainder_z
      - .offset:         88
        .size:           8
        .value_kind:     hidden_global_offset_x
      - .offset:         96
        .size:           8
        .value_kind:     hidden_global_offset_y
      - .offset:         104
        .size:           8
        .value_kind:     hidden_global_offset_z
      - .offset:         112
        .size:           2
        .value_kind:     hidden_grid_dims
    .group_segment_fixed_size: 0
    .kernarg_segment_align: 8
    .kernarg_segment_size: 304
    .language:       OpenCL C
    .language_version:
      - 2
      - 0
    .max_flat_workgroup_size: 256
    .name:           _ZL39rocblas_check_numerics_ge_matrix_kernelILi16ELi16EPK16rocblas_bfloat16EviiT1_lllP24rocblas_check_numerics_s
    .private_segment_fixed_size: 0
    .sgpr_count:     16
    .sgpr_spill_count: 0
    .symbol:         _ZL39rocblas_check_numerics_ge_matrix_kernelILi16ELi16EPK16rocblas_bfloat16EviiT1_lllP24rocblas_check_numerics_s.kd
    .uniform_work_group_size: 1
    .uses_dynamic_stack: false
    .vgpr_count:     6
    .vgpr_spill_count: 0
    .wavefront_size: 32
  - .args:
      - .offset:         0
        .size:           1
        .value_kind:     by_value
      - .offset:         4
        .size:           4
        .value_kind:     by_value
      - .address_space:  global
        .offset:         8
        .size:           8
        .value_kind:     global_buffer
      - .offset:         16
        .size:           8
        .value_kind:     by_value
      - .offset:         24
        .size:           8
        .value_kind:     by_value
      - .offset:         32
        .size:           8
        .value_kind:     by_value
      - .address_space:  global
        .offset:         40
        .size:           8
        .value_kind:     global_buffer
      - .offset:         48
        .size:           4
        .value_kind:     hidden_block_count_x
      - .offset:         52
        .size:           4
        .value_kind:     hidden_block_count_y
      - .offset:         56
        .size:           4
        .value_kind:     hidden_block_count_z
      - .offset:         60
        .size:           2
        .value_kind:     hidden_group_size_x
      - .offset:         62
        .size:           2
        .value_kind:     hidden_group_size_y
      - .offset:         64
        .size:           2
        .value_kind:     hidden_group_size_z
      - .offset:         66
        .size:           2
        .value_kind:     hidden_remainder_x
      - .offset:         68
        .size:           2
        .value_kind:     hidden_remainder_y
      - .offset:         70
        .size:           2
        .value_kind:     hidden_remainder_z
      - .offset:         88
        .size:           8
        .value_kind:     hidden_global_offset_x
      - .offset:         96
        .size:           8
        .value_kind:     hidden_global_offset_y
      - .offset:         104
        .size:           8
        .value_kind:     hidden_global_offset_z
      - .offset:         112
        .size:           2
        .value_kind:     hidden_grid_dims
    .group_segment_fixed_size: 0
    .kernarg_segment_align: 8
    .kernarg_segment_size: 304
    .language:       OpenCL C
    .language_version:
      - 2
      - 0
    .max_flat_workgroup_size: 256
    .name:           _ZL49rocblas_check_numerics_sym_herm_tri_matrix_kernelILi16ELi16EPK16rocblas_bfloat16EvbiT1_lllP24rocblas_check_numerics_s
    .private_segment_fixed_size: 0
    .sgpr_count:     16
    .sgpr_spill_count: 0
    .symbol:         _ZL49rocblas_check_numerics_sym_herm_tri_matrix_kernelILi16ELi16EPK16rocblas_bfloat16EvbiT1_lllP24rocblas_check_numerics_s.kd
    .uniform_work_group_size: 1
    .uses_dynamic_stack: false
    .vgpr_count:     6
    .vgpr_spill_count: 0
    .wavefront_size: 32
  - .args:
      - .offset:         0
        .size:           4
        .value_kind:     by_value
      - .offset:         4
        .size:           4
        .value_kind:     by_value
      - .address_space:  global
        .offset:         8
        .size:           8
        .value_kind:     global_buffer
      - .offset:         16
        .size:           8
        .value_kind:     by_value
      - .offset:         24
        .size:           8
        .value_kind:     by_value
      - .offset:         32
        .size:           8
        .value_kind:     by_value
      - .address_space:  global
        .offset:         40
        .size:           8
        .value_kind:     global_buffer
      - .offset:         48
        .size:           4
        .value_kind:     hidden_block_count_x
      - .offset:         52
        .size:           4
        .value_kind:     hidden_block_count_y
      - .offset:         56
        .size:           4
        .value_kind:     hidden_block_count_z
      - .offset:         60
        .size:           2
        .value_kind:     hidden_group_size_x
      - .offset:         62
        .size:           2
        .value_kind:     hidden_group_size_y
      - .offset:         64
        .size:           2
        .value_kind:     hidden_group_size_z
      - .offset:         66
        .size:           2
        .value_kind:     hidden_remainder_x
      - .offset:         68
        .size:           2
        .value_kind:     hidden_remainder_y
      - .offset:         70
        .size:           2
        .value_kind:     hidden_remainder_z
      - .offset:         88
        .size:           8
        .value_kind:     hidden_global_offset_x
      - .offset:         96
        .size:           8
        .value_kind:     hidden_global_offset_y
      - .offset:         104
        .size:           8
        .value_kind:     hidden_global_offset_z
      - .offset:         112
        .size:           2
        .value_kind:     hidden_grid_dims
    .group_segment_fixed_size: 0
    .kernarg_segment_align: 8
    .kernarg_segment_size: 304
    .language:       OpenCL C
    .language_version:
      - 2
      - 0
    .max_flat_workgroup_size: 256
    .name:           _ZL39rocblas_check_numerics_ge_matrix_kernelILi16ELi16EPKPK16rocblas_bfloat16EviiT1_lllP24rocblas_check_numerics_s
    .private_segment_fixed_size: 0
    .sgpr_count:     13
    .sgpr_spill_count: 0
    .symbol:         _ZL39rocblas_check_numerics_ge_matrix_kernelILi16ELi16EPKPK16rocblas_bfloat16EviiT1_lllP24rocblas_check_numerics_s.kd
    .uniform_work_group_size: 1
    .uses_dynamic_stack: false
    .vgpr_count:     6
    .vgpr_spill_count: 0
    .wavefront_size: 32
  - .args:
      - .offset:         0
        .size:           1
        .value_kind:     by_value
      - .offset:         4
        .size:           4
        .value_kind:     by_value
      - .address_space:  global
        .offset:         8
        .size:           8
        .value_kind:     global_buffer
      - .offset:         16
        .size:           8
        .value_kind:     by_value
      - .offset:         24
        .size:           8
        .value_kind:     by_value
      - .offset:         32
        .size:           8
        .value_kind:     by_value
      - .address_space:  global
        .offset:         40
        .size:           8
        .value_kind:     global_buffer
      - .offset:         48
        .size:           4
        .value_kind:     hidden_block_count_x
      - .offset:         52
        .size:           4
        .value_kind:     hidden_block_count_y
      - .offset:         56
        .size:           4
        .value_kind:     hidden_block_count_z
      - .offset:         60
        .size:           2
        .value_kind:     hidden_group_size_x
      - .offset:         62
        .size:           2
        .value_kind:     hidden_group_size_y
      - .offset:         64
        .size:           2
        .value_kind:     hidden_group_size_z
      - .offset:         66
        .size:           2
        .value_kind:     hidden_remainder_x
      - .offset:         68
        .size:           2
        .value_kind:     hidden_remainder_y
      - .offset:         70
        .size:           2
        .value_kind:     hidden_remainder_z
      - .offset:         88
        .size:           8
        .value_kind:     hidden_global_offset_x
      - .offset:         96
        .size:           8
        .value_kind:     hidden_global_offset_y
      - .offset:         104
        .size:           8
        .value_kind:     hidden_global_offset_z
      - .offset:         112
        .size:           2
        .value_kind:     hidden_grid_dims
    .group_segment_fixed_size: 0
    .kernarg_segment_align: 8
    .kernarg_segment_size: 304
    .language:       OpenCL C
    .language_version:
      - 2
      - 0
    .max_flat_workgroup_size: 256
    .name:           _ZL49rocblas_check_numerics_sym_herm_tri_matrix_kernelILi16ELi16EPKPK16rocblas_bfloat16EvbiT1_lllP24rocblas_check_numerics_s
    .private_segment_fixed_size: 0
    .sgpr_count:     14
    .sgpr_spill_count: 0
    .symbol:         _ZL49rocblas_check_numerics_sym_herm_tri_matrix_kernelILi16ELi16EPKPK16rocblas_bfloat16EvbiT1_lllP24rocblas_check_numerics_s.kd
    .uniform_work_group_size: 1
    .uses_dynamic_stack: false
    .vgpr_count:     6
    .vgpr_spill_count: 0
    .wavefront_size: 32
amdhsa.target:   amdgcn-amd-amdhsa--gfx1250
amdhsa.version:
  - 1
  - 2
...

	.end_amdgpu_metadata
